;; amdgpu-corpus repo=ROCm/rocFFT kind=compiled arch=gfx1201 opt=O3
	.text
	.amdgcn_target "amdgcn-amd-amdhsa--gfx1201"
	.amdhsa_code_object_version 6
	.protected	fft_rtc_fwd_len2880_factors_10_6_6_2_2_2_wgs_96_tpt_96_halfLds_sp_ip_CI_sbrr_dirReg ; -- Begin function fft_rtc_fwd_len2880_factors_10_6_6_2_2_2_wgs_96_tpt_96_halfLds_sp_ip_CI_sbrr_dirReg
	.globl	fft_rtc_fwd_len2880_factors_10_6_6_2_2_2_wgs_96_tpt_96_halfLds_sp_ip_CI_sbrr_dirReg
	.p2align	8
	.type	fft_rtc_fwd_len2880_factors_10_6_6_2_2_2_wgs_96_tpt_96_halfLds_sp_ip_CI_sbrr_dirReg,@function
fft_rtc_fwd_len2880_factors_10_6_6_2_2_2_wgs_96_tpt_96_halfLds_sp_ip_CI_sbrr_dirReg: ; @fft_rtc_fwd_len2880_factors_10_6_6_2_2_2_wgs_96_tpt_96_halfLds_sp_ip_CI_sbrr_dirReg
; %bb.0:
	s_clause 0x2
	s_load_b64 s[12:13], s[0:1], 0x18
	s_load_b128 s[4:7], s[0:1], 0x0
	s_load_b64 s[10:11], s[0:1], 0x50
	v_mul_u32_u24_e32 v1, 0x2ab, v0
	v_mov_b32_e32 v3, 0
	s_delay_alu instid0(VALU_DEP_2) | instskip(NEXT) | instid1(VALU_DEP_1)
	v_lshrrev_b32_e32 v1, 16, v1
	v_add_nc_u32_e32 v5, ttmp9, v1
	v_mov_b32_e32 v1, 0
	v_mov_b32_e32 v2, 0
	;; [unrolled: 1-line block ×3, first 2 shown]
	s_wait_kmcnt 0x0
	s_load_b64 s[8:9], s[12:13], 0x0
	v_cmp_lt_u64_e64 s2, s[6:7], 2
	s_delay_alu instid0(VALU_DEP_1)
	s_and_b32 vcc_lo, exec_lo, s2
	s_cbranch_vccnz .LBB0_8
; %bb.1:
	s_load_b64 s[2:3], s[0:1], 0x10
	v_mov_b32_e32 v1, 0
	v_mov_b32_e32 v2, 0
	s_add_nc_u64 s[14:15], s[12:13], 8
	s_mov_b64 s[16:17], 1
	s_wait_kmcnt 0x0
	s_add_nc_u64 s[18:19], s[2:3], 8
	s_mov_b32 s3, 0
.LBB0_2:                                ; =>This Inner Loop Header: Depth=1
	s_load_b64 s[20:21], s[18:19], 0x0
                                        ; implicit-def: $vgpr7_vgpr8
	s_mov_b32 s2, exec_lo
	s_wait_kmcnt 0x0
	v_or_b32_e32 v4, s21, v6
	s_delay_alu instid0(VALU_DEP_1)
	v_cmpx_ne_u64_e32 0, v[3:4]
	s_wait_alu 0xfffe
	s_xor_b32 s22, exec_lo, s2
	s_cbranch_execz .LBB0_4
; %bb.3:                                ;   in Loop: Header=BB0_2 Depth=1
	s_cvt_f32_u32 s2, s20
	s_cvt_f32_u32 s23, s21
	s_sub_nc_u64 s[26:27], 0, s[20:21]
	s_wait_alu 0xfffe
	s_delay_alu instid0(SALU_CYCLE_1) | instskip(SKIP_1) | instid1(SALU_CYCLE_2)
	s_fmamk_f32 s2, s23, 0x4f800000, s2
	s_wait_alu 0xfffe
	v_s_rcp_f32 s2, s2
	s_delay_alu instid0(TRANS32_DEP_1) | instskip(SKIP_1) | instid1(SALU_CYCLE_2)
	s_mul_f32 s2, s2, 0x5f7ffffc
	s_wait_alu 0xfffe
	s_mul_f32 s23, s2, 0x2f800000
	s_wait_alu 0xfffe
	s_delay_alu instid0(SALU_CYCLE_2) | instskip(SKIP_1) | instid1(SALU_CYCLE_2)
	s_trunc_f32 s23, s23
	s_wait_alu 0xfffe
	s_fmamk_f32 s2, s23, 0xcf800000, s2
	s_cvt_u32_f32 s25, s23
	s_wait_alu 0xfffe
	s_delay_alu instid0(SALU_CYCLE_1) | instskip(SKIP_1) | instid1(SALU_CYCLE_2)
	s_cvt_u32_f32 s24, s2
	s_wait_alu 0xfffe
	s_mul_u64 s[28:29], s[26:27], s[24:25]
	s_wait_alu 0xfffe
	s_mul_hi_u32 s31, s24, s29
	s_mul_i32 s30, s24, s29
	s_mul_hi_u32 s2, s24, s28
	s_mul_i32 s33, s25, s28
	s_wait_alu 0xfffe
	s_add_nc_u64 s[30:31], s[2:3], s[30:31]
	s_mul_hi_u32 s23, s25, s28
	s_mul_hi_u32 s34, s25, s29
	s_add_co_u32 s2, s30, s33
	s_wait_alu 0xfffe
	s_add_co_ci_u32 s2, s31, s23
	s_mul_i32 s28, s25, s29
	s_add_co_ci_u32 s29, s34, 0
	s_wait_alu 0xfffe
	s_add_nc_u64 s[28:29], s[2:3], s[28:29]
	s_wait_alu 0xfffe
	v_add_co_u32 v4, s2, s24, s28
	s_delay_alu instid0(VALU_DEP_1) | instskip(SKIP_1) | instid1(VALU_DEP_1)
	s_cmp_lg_u32 s2, 0
	s_add_co_ci_u32 s25, s25, s29
	v_readfirstlane_b32 s24, v4
	s_wait_alu 0xfffe
	s_delay_alu instid0(VALU_DEP_1)
	s_mul_u64 s[26:27], s[26:27], s[24:25]
	s_wait_alu 0xfffe
	s_mul_hi_u32 s29, s24, s27
	s_mul_i32 s28, s24, s27
	s_mul_hi_u32 s2, s24, s26
	s_mul_i32 s30, s25, s26
	s_wait_alu 0xfffe
	s_add_nc_u64 s[28:29], s[2:3], s[28:29]
	s_mul_hi_u32 s23, s25, s26
	s_mul_hi_u32 s24, s25, s27
	s_wait_alu 0xfffe
	s_add_co_u32 s2, s28, s30
	s_add_co_ci_u32 s2, s29, s23
	s_mul_i32 s26, s25, s27
	s_add_co_ci_u32 s27, s24, 0
	s_wait_alu 0xfffe
	s_add_nc_u64 s[26:27], s[2:3], s[26:27]
	s_wait_alu 0xfffe
	v_add_co_u32 v4, s2, v4, s26
	s_delay_alu instid0(VALU_DEP_1) | instskip(SKIP_1) | instid1(VALU_DEP_1)
	s_cmp_lg_u32 s2, 0
	s_add_co_ci_u32 s2, s25, s27
	v_mul_hi_u32 v13, v5, v4
	s_wait_alu 0xfffe
	v_mad_co_u64_u32 v[7:8], null, v5, s2, 0
	v_mad_co_u64_u32 v[9:10], null, v6, v4, 0
	;; [unrolled: 1-line block ×3, first 2 shown]
	s_delay_alu instid0(VALU_DEP_3) | instskip(SKIP_1) | instid1(VALU_DEP_4)
	v_add_co_u32 v4, vcc_lo, v13, v7
	s_wait_alu 0xfffd
	v_add_co_ci_u32_e32 v7, vcc_lo, 0, v8, vcc_lo
	s_delay_alu instid0(VALU_DEP_2) | instskip(SKIP_1) | instid1(VALU_DEP_2)
	v_add_co_u32 v4, vcc_lo, v4, v9
	s_wait_alu 0xfffd
	v_add_co_ci_u32_e32 v4, vcc_lo, v7, v10, vcc_lo
	s_wait_alu 0xfffd
	v_add_co_ci_u32_e32 v7, vcc_lo, 0, v12, vcc_lo
	s_delay_alu instid0(VALU_DEP_2) | instskip(SKIP_1) | instid1(VALU_DEP_2)
	v_add_co_u32 v4, vcc_lo, v4, v11
	s_wait_alu 0xfffd
	v_add_co_ci_u32_e32 v9, vcc_lo, 0, v7, vcc_lo
	s_delay_alu instid0(VALU_DEP_2) | instskip(SKIP_1) | instid1(VALU_DEP_3)
	v_mul_lo_u32 v10, s21, v4
	v_mad_co_u64_u32 v[7:8], null, s20, v4, 0
	v_mul_lo_u32 v11, s20, v9
	s_delay_alu instid0(VALU_DEP_2) | instskip(NEXT) | instid1(VALU_DEP_2)
	v_sub_co_u32 v7, vcc_lo, v5, v7
	v_add3_u32 v8, v8, v11, v10
	s_delay_alu instid0(VALU_DEP_1) | instskip(SKIP_1) | instid1(VALU_DEP_1)
	v_sub_nc_u32_e32 v10, v6, v8
	s_wait_alu 0xfffd
	v_subrev_co_ci_u32_e64 v10, s2, s21, v10, vcc_lo
	v_add_co_u32 v11, s2, v4, 2
	s_wait_alu 0xf1ff
	v_add_co_ci_u32_e64 v12, s2, 0, v9, s2
	v_sub_co_u32 v13, s2, v7, s20
	v_sub_co_ci_u32_e32 v8, vcc_lo, v6, v8, vcc_lo
	s_wait_alu 0xf1ff
	v_subrev_co_ci_u32_e64 v10, s2, 0, v10, s2
	s_delay_alu instid0(VALU_DEP_3) | instskip(NEXT) | instid1(VALU_DEP_3)
	v_cmp_le_u32_e32 vcc_lo, s20, v13
	v_cmp_eq_u32_e64 s2, s21, v8
	s_wait_alu 0xfffd
	v_cndmask_b32_e64 v13, 0, -1, vcc_lo
	v_cmp_le_u32_e32 vcc_lo, s21, v10
	s_wait_alu 0xfffd
	v_cndmask_b32_e64 v14, 0, -1, vcc_lo
	v_cmp_le_u32_e32 vcc_lo, s20, v7
	;; [unrolled: 3-line block ×3, first 2 shown]
	s_wait_alu 0xfffd
	v_cndmask_b32_e64 v15, 0, -1, vcc_lo
	v_cmp_eq_u32_e32 vcc_lo, s21, v10
	s_wait_alu 0xf1ff
	s_delay_alu instid0(VALU_DEP_2)
	v_cndmask_b32_e64 v7, v15, v7, s2
	s_wait_alu 0xfffd
	v_cndmask_b32_e32 v10, v14, v13, vcc_lo
	v_add_co_u32 v13, vcc_lo, v4, 1
	s_wait_alu 0xfffd
	v_add_co_ci_u32_e32 v14, vcc_lo, 0, v9, vcc_lo
	s_delay_alu instid0(VALU_DEP_3) | instskip(SKIP_2) | instid1(VALU_DEP_3)
	v_cmp_ne_u32_e32 vcc_lo, 0, v10
	s_wait_alu 0xfffd
	v_cndmask_b32_e32 v10, v13, v11, vcc_lo
	v_cndmask_b32_e32 v8, v14, v12, vcc_lo
	v_cmp_ne_u32_e32 vcc_lo, 0, v7
	s_wait_alu 0xfffd
	s_delay_alu instid0(VALU_DEP_2)
	v_dual_cndmask_b32 v7, v4, v10 :: v_dual_cndmask_b32 v8, v9, v8
.LBB0_4:                                ;   in Loop: Header=BB0_2 Depth=1
	s_wait_alu 0xfffe
	s_and_not1_saveexec_b32 s2, s22
	s_cbranch_execz .LBB0_6
; %bb.5:                                ;   in Loop: Header=BB0_2 Depth=1
	v_cvt_f32_u32_e32 v4, s20
	s_sub_co_i32 s22, 0, s20
	s_delay_alu instid0(VALU_DEP_1) | instskip(NEXT) | instid1(TRANS32_DEP_1)
	v_rcp_iflag_f32_e32 v4, v4
	v_mul_f32_e32 v4, 0x4f7ffffe, v4
	s_delay_alu instid0(VALU_DEP_1) | instskip(SKIP_1) | instid1(VALU_DEP_1)
	v_cvt_u32_f32_e32 v4, v4
	s_wait_alu 0xfffe
	v_mul_lo_u32 v7, s22, v4
	s_delay_alu instid0(VALU_DEP_1) | instskip(NEXT) | instid1(VALU_DEP_1)
	v_mul_hi_u32 v7, v4, v7
	v_add_nc_u32_e32 v4, v4, v7
	s_delay_alu instid0(VALU_DEP_1) | instskip(NEXT) | instid1(VALU_DEP_1)
	v_mul_hi_u32 v4, v5, v4
	v_mul_lo_u32 v7, v4, s20
	v_add_nc_u32_e32 v8, 1, v4
	s_delay_alu instid0(VALU_DEP_2) | instskip(NEXT) | instid1(VALU_DEP_1)
	v_sub_nc_u32_e32 v7, v5, v7
	v_subrev_nc_u32_e32 v9, s20, v7
	v_cmp_le_u32_e32 vcc_lo, s20, v7
	s_wait_alu 0xfffd
	s_delay_alu instid0(VALU_DEP_2) | instskip(NEXT) | instid1(VALU_DEP_1)
	v_dual_cndmask_b32 v7, v7, v9 :: v_dual_cndmask_b32 v4, v4, v8
	v_cmp_le_u32_e32 vcc_lo, s20, v7
	s_delay_alu instid0(VALU_DEP_2) | instskip(SKIP_1) | instid1(VALU_DEP_1)
	v_add_nc_u32_e32 v8, 1, v4
	s_wait_alu 0xfffd
	v_dual_cndmask_b32 v7, v4, v8 :: v_dual_mov_b32 v8, v3
.LBB0_6:                                ;   in Loop: Header=BB0_2 Depth=1
	s_wait_alu 0xfffe
	s_or_b32 exec_lo, exec_lo, s2
	s_load_b64 s[22:23], s[14:15], 0x0
	s_delay_alu instid0(VALU_DEP_1)
	v_mul_lo_u32 v4, v8, s20
	v_mul_lo_u32 v11, v7, s21
	v_mad_co_u64_u32 v[9:10], null, v7, s20, 0
	s_add_nc_u64 s[16:17], s[16:17], 1
	s_add_nc_u64 s[14:15], s[14:15], 8
	s_wait_alu 0xfffe
	v_cmp_ge_u64_e64 s2, s[16:17], s[6:7]
	s_add_nc_u64 s[18:19], s[18:19], 8
	s_delay_alu instid0(VALU_DEP_2) | instskip(NEXT) | instid1(VALU_DEP_3)
	v_add3_u32 v4, v10, v11, v4
	v_sub_co_u32 v5, vcc_lo, v5, v9
	s_wait_alu 0xfffd
	s_delay_alu instid0(VALU_DEP_2) | instskip(SKIP_3) | instid1(VALU_DEP_2)
	v_sub_co_ci_u32_e32 v4, vcc_lo, v6, v4, vcc_lo
	s_and_b32 vcc_lo, exec_lo, s2
	s_wait_kmcnt 0x0
	v_mul_lo_u32 v6, s23, v5
	v_mul_lo_u32 v4, s22, v4
	v_mad_co_u64_u32 v[1:2], null, s22, v5, v[1:2]
	s_delay_alu instid0(VALU_DEP_1)
	v_add3_u32 v2, v6, v2, v4
	s_wait_alu 0xfffe
	s_cbranch_vccnz .LBB0_9
; %bb.7:                                ;   in Loop: Header=BB0_2 Depth=1
	v_dual_mov_b32 v5, v7 :: v_dual_mov_b32 v6, v8
	s_branch .LBB0_2
.LBB0_8:
	v_dual_mov_b32 v8, v6 :: v_dual_mov_b32 v7, v5
.LBB0_9:
	s_lshl_b64 s[2:3], s[6:7], 3
	v_mul_hi_u32 v3, 0x2aaaaab, v0
	s_wait_alu 0xfffe
	s_add_nc_u64 s[2:3], s[12:13], s[2:3]
	s_load_b64 s[0:1], s[0:1], 0x20
	s_load_b64 s[2:3], s[2:3], 0x0
                                        ; implicit-def: $vgpr58
                                        ; implicit-def: $vgpr56
                                        ; implicit-def: $vgpr63
                                        ; implicit-def: $vgpr79
                                        ; implicit-def: $vgpr87
                                        ; implicit-def: $vgpr85
                                        ; implicit-def: $vgpr60
                                        ; implicit-def: $vgpr61
                                        ; implicit-def: $vgpr62
                                        ; implicit-def: $vgpr64
                                        ; implicit-def: $vgpr66
                                        ; implicit-def: $vgpr68
                                        ; implicit-def: $vgpr70
                                        ; implicit-def: $vgpr83_vgpr84
                                        ; implicit-def: $vgpr81_vgpr82
                                        ; implicit-def: $vgpr77_vgpr78
                                        ; implicit-def: $vgpr75_vgpr76
                                        ; implicit-def: $vgpr73_vgpr74
                                        ; implicit-def: $vgpr71_vgpr72
	s_delay_alu instid0(VALU_DEP_1) | instskip(NEXT) | instid1(VALU_DEP_1)
	v_mul_u32_u24_e32 v3, 0x60, v3
	v_sub_nc_u32_e32 v52, v0, v3
	s_delay_alu instid0(VALU_DEP_1)
	v_add_nc_u32_e32 v48, 0x60, v52
	v_add_nc_u32_e32 v44, 0xc0, v52
	;; [unrolled: 1-line block ×4, first 2 shown]
	s_wait_kmcnt 0x0
	v_cmp_gt_u64_e32 vcc_lo, s[0:1], v[7:8]
	v_mul_lo_u32 v3, s2, v8
	v_mul_lo_u32 v4, s3, v7
	v_mad_co_u64_u32 v[0:1], null, s2, v7, v[1:2]
	v_cmp_le_u64_e64 s0, s[0:1], v[7:8]
	v_add_nc_u32_e32 v50, 0x120, v52
	v_or_b32_e32 v46, 0x180, v52
	v_add_nc_u32_e32 v40, 0x240, v52
	v_add_nc_u32_e32 v129, 0x2a0, v52
	v_or_b32_e32 v128, 0x300, v52
	v_add_nc_u32_e32 v127, 0x360, v52
	v_add_nc_u32_e32 v125, 0x420, v52
	v_or_b32_e32 v124, 0x480, v52
	v_add_nc_u32_e32 v123, 0x4e0, v52
	v_add3_u32 v1, v4, v1, v3
	v_add_nc_u32_e32 v122, 0x540, v52
                                        ; implicit-def: $vgpr2
	s_and_saveexec_b32 s1, s0
	s_wait_alu 0xfffe
	s_xor_b32 s0, exec_lo, s1
	s_cbranch_execz .LBB0_11
; %bb.10:
	v_dual_mov_b32 v53, 0 :: v_dual_add_nc_u32 v58, 0x60, v52
	v_add_nc_u32_e32 v56, 0xc0, v52
	v_add_nc_u32_e32 v2, 0x1e0, v52
	;; [unrolled: 1-line block ×3, first 2 shown]
	v_or_b32_e32 v87, 0x180, v52
	v_dual_mov_b32 v88, v53 :: v_dual_add_nc_u32 v85, 0x240, v52
	v_mov_b32_e32 v86, v53
	v_dual_mov_b32 v3, v53 :: v_dual_add_nc_u32 v60, 0x2a0, v52
	v_mov_b32_e32 v59, v53
	v_mov_b32_e32 v57, v53
	v_dual_mov_b32 v80, v53 :: v_dual_add_nc_u32 v63, 0x3c0, v52
	v_dual_mov_b32 v77, v79 :: v_dual_add_nc_u32 v68, 0x4e0, v52
	;; [unrolled: 1-line block ×3, first 2 shown]
	v_mov_b32_e32 v84, v59
	v_dual_mov_b32 v82, v57 :: v_dual_mov_b32 v71, v85
	v_mov_b32_e32 v74, v3
	v_or_b32_e32 v61, 0x300, v52
	v_dual_mov_b32 v83, v58 :: v_dual_add_nc_u32 v62, 0x360, v52
	v_dual_mov_b32 v81, v56 :: v_dual_add_nc_u32 v64, 0x420, v52
	v_or_b32_e32 v66, 0x480, v52
	v_mov_b32_e32 v78, v80
	v_dual_mov_b32 v76, v88 :: v_dual_mov_b32 v73, v2
	v_mov_b32_e32 v72, v86
.LBB0_11:
	s_wait_alu 0xfffe
	s_or_saveexec_b32 s1, s0
	v_lshlrev_b64_e32 v[54:55], 3, v[0:1]
	v_add_nc_u32_e32 v136, 0x5a0, v52
	v_add_nc_u32_e32 v133, 0x6c0, v52
	;; [unrolled: 1-line block ×3, first 2 shown]
	v_or_b32_e32 v80, 0x900, v52
	v_add_nc_u32_e32 v57, 0xa20, v52
	v_or_b32_e32 v137, 0x600, v52
	v_add_nc_u32_e32 v134, 0x720, v52
	v_add_nc_u32_e32 v131, 0x840, v52
	;; [unrolled: 1-line block ×3, first 2 shown]
	v_or_b32_e32 v135, 0x780, v52
	v_add_nc_u32_e32 v130, 0x8a0, v52
	v_add_nc_u32_e32 v59, 0x9c0, v52
                                        ; implicit-def: $vgpr20
                                        ; implicit-def: $vgpr91
                                        ; implicit-def: $vgpr97
                                        ; implicit-def: $vgpr93
                                        ; implicit-def: $vgpr95
                                        ; implicit-def: $vgpr14
                                        ; implicit-def: $vgpr22
                                        ; implicit-def: $vgpr30
                                        ; implicit-def: $vgpr24
                                        ; implicit-def: $vgpr26
                                        ; implicit-def: $vgpr1
                                        ; implicit-def: $vgpr6
                                        ; implicit-def: $vgpr16
                                        ; implicit-def: $vgpr10
                                        ; implicit-def: $vgpr8
                                        ; implicit-def: $vgpr12
                                        ; implicit-def: $vgpr18
                                        ; implicit-def: $vgpr34
                                        ; implicit-def: $vgpr105
                                        ; implicit-def: $vgpr4
                                        ; implicit-def: $vgpr32
                                        ; implicit-def: $vgpr36
                                        ; implicit-def: $vgpr38
                                        ; implicit-def: $vgpr107
                                        ; implicit-def: $vgpr28
                                        ; implicit-def: $vgpr99
                                        ; implicit-def: $vgpr101
                                        ; implicit-def: $vgpr103
                                        ; implicit-def: $vgpr109
                                        ; implicit-def: $vgpr89
	s_wait_alu 0xfffe
	s_xor_b32 exec_lo, exec_lo, s1
	s_cbranch_execz .LBB0_13
; %bb.12:
	v_mad_co_u64_u32 v[4:5], null, s8, v50, 0
	v_mad_co_u64_u32 v[0:1], null, s8, v52, 0
	;; [unrolled: 1-line block ×4, first 2 shown]
	s_delay_alu instid0(VALU_DEP_4) | instskip(SKIP_2) | instid1(VALU_DEP_3)
	v_mov_b32_e32 v2, v5
	v_mad_co_u64_u32 v[25:26], null, s8, v48, 0
	v_mad_co_u64_u32 v[30:31], null, s8, v129, 0
	;; [unrolled: 1-line block ×3, first 2 shown]
	v_mov_b32_e32 v1, v7
	v_mad_co_u64_u32 v[9:10], null, s8, v127, 0
	v_mad_co_u64_u32 v[11:12], null, s9, v50, v[2:3]
	s_delay_alu instid0(VALU_DEP_3) | instskip(SKIP_2) | instid1(VALU_DEP_4)
	v_mad_co_u64_u32 v[12:13], null, s9, v40, v[1:2]
	v_mov_b32_e32 v1, v8
	v_mad_co_u64_u32 v[13:14], null, s8, v124, 0
	v_dual_mov_b32 v8, v10 :: v_dual_mov_b32 v5, v11
	s_delay_alu instid0(VALU_DEP_3) | instskip(SKIP_2) | instid1(VALU_DEP_4)
	v_lshlrev_b64_e32 v[0:1], 3, v[0:1]
	v_mov_b32_e32 v7, v12
	v_add_co_u32 v2, s0, s10, v54
	v_mad_co_u64_u32 v[10:11], null, s9, v127, v[8:9]
	v_mad_co_u64_u32 v[11:12], null, s8, v136, 0
	v_mov_b32_e32 v8, v14
	s_wait_alu 0xf1ff
	v_add_co_ci_u32_e64 v3, s0, s11, v55, s0
	v_lshlrev_b64_e32 v[4:5], 3, v[4:5]
	v_add_co_u32 v0, s0, v2, v0
	v_mad_co_u64_u32 v[14:15], null, s9, v124, v[8:9]
	v_mov_b32_e32 v8, v12
	v_lshlrev_b64_e32 v[9:10], 3, v[9:10]
	v_lshlrev_b64_e32 v[6:7], 3, v[6:7]
	v_mad_co_u64_u32 v[15:16], null, s8, v133, 0
	s_wait_alu 0xf1ff
	v_add_co_ci_u32_e64 v1, s0, v3, v1, s0
	v_add_co_u32 v4, s0, v2, v4
	s_wait_alu 0xf1ff
	v_add_co_ci_u32_e64 v5, s0, v3, v5, s0
	v_mad_co_u64_u32 v[17:18], null, s9, v136, v[8:9]
	v_add_co_u32 v6, s0, v2, v6
	v_mad_co_u64_u32 v[18:19], null, s8, v132, 0
	s_wait_alu 0xf1ff
	v_add_co_ci_u32_e64 v7, s0, v3, v7, s0
	v_mov_b32_e32 v8, v16
	v_add_co_u32 v9, s0, v2, v9
	v_mov_b32_e32 v12, v17
	v_lshlrev_b64_e32 v[13:14], 3, v[13:14]
	s_wait_alu 0xf1ff
	v_add_co_ci_u32_e64 v10, s0, v3, v10, s0
	v_mad_co_u64_u32 v[16:17], null, s9, v133, v[8:9]
	v_mov_b32_e32 v8, v19
	s_delay_alu instid0(VALU_DEP_4) | instskip(SKIP_2) | instid1(VALU_DEP_3)
	v_add_co_u32 v13, s0, v2, v13
	s_wait_alu 0xf1ff
	v_add_co_ci_u32_e64 v14, s0, v3, v14, s0
	v_mad_co_u64_u32 v[22:23], null, s9, v132, v[8:9]
	v_mad_co_u64_u32 v[23:24], null, s8, v57, 0
	v_dual_mov_b32 v8, v21 :: v_dual_add_nc_u32 v41, 0xae0, v52
	v_lshlrev_b64_e32 v[15:16], 3, v[15:16]
	v_mov_b32_e32 v53, 0
	v_mov_b32_e32 v19, v22
	s_delay_alu instid0(VALU_DEP_4) | instskip(SKIP_2) | instid1(VALU_DEP_4)
	v_mad_co_u64_u32 v[21:22], null, s9, v80, v[8:9]
	v_mov_b32_e32 v8, v24
	v_mad_co_u64_u32 v[87:88], null, s8, v41, 0
	v_lshlrev_b64_e32 v[17:18], 3, v[18:19]
	v_mad_co_u64_u32 v[85:86], null, s8, v59, 0
	s_delay_alu instid0(VALU_DEP_4) | instskip(SKIP_4) | instid1(VALU_DEP_4)
	v_mad_co_u64_u32 v[27:28], null, s9, v57, v[8:9]
	v_mov_b32_e32 v8, v26
	v_mad_co_u64_u32 v[28:29], null, s8, v46, 0
	v_lshlrev_b64_e32 v[19:20], 3, v[20:21]
	v_mov_b32_e32 v56, v44
	v_mad_co_u64_u32 v[21:22], null, s9, v48, v[8:9]
	v_mov_b32_e32 v24, v27
	v_mov_b32_e32 v58, v48
	v_dual_mov_b32 v8, v29 :: v_dual_mov_b32 v51, v53
	v_mov_b32_e32 v43, v53
	v_dual_mov_b32 v47, v53 :: v_dual_mov_b32 v26, v21
	s_delay_alu instid0(VALU_DEP_3) | instskip(SKIP_2) | instid1(VALU_DEP_3)
	v_mad_co_u64_u32 v[21:22], null, s9, v46, v[8:9]
	v_dual_mov_b32 v8, v31 :: v_dual_mov_b32 v49, v53
	v_mov_b32_e32 v45, v53
	v_mov_b32_e32 v29, v21
	v_lshlrev_b64_e32 v[11:12], 3, v[11:12]
	s_delay_alu instid0(VALU_DEP_1) | instskip(SKIP_1) | instid1(VALU_DEP_2)
	v_add_co_u32 v11, s0, v2, v11
	s_wait_alu 0xf1ff
	v_add_co_ci_u32_e64 v12, s0, v3, v12, s0
	v_add_co_u32 v15, s0, v2, v15
	s_wait_alu 0xf1ff
	v_add_co_ci_u32_e64 v16, s0, v3, v16, s0
	;; [unrolled: 3-line block ×4, first 2 shown]
	v_lshlrev_b64_e32 v[19:20], 3, v[23:24]
	v_mad_co_u64_u32 v[22:23], null, s8, v126, 0
	s_delay_alu instid0(VALU_DEP_2) | instskip(SKIP_1) | instid1(VALU_DEP_3)
	v_add_co_u32 v34, s0, v2, v19
	s_wait_alu 0xf1ff
	v_add_co_ci_u32_e64 v35, s0, v3, v20, s0
	v_lshlrev_b64_e32 v[19:20], 3, v[25:26]
	v_mad_co_u64_u32 v[24:25], null, s9, v129, v[8:9]
	v_mad_co_u64_u32 v[25:26], null, s8, v123, 0
	v_mov_b32_e32 v8, v23
	s_delay_alu instid0(VALU_DEP_4)
	v_add_co_u32 v36, s0, v2, v19
	s_wait_alu 0xf1ff
	v_add_co_ci_u32_e64 v37, s0, v3, v20, s0
	v_lshlrev_b64_e32 v[19:20], 3, v[28:29]
	v_mov_b32_e32 v31, v24
	v_mad_co_u64_u32 v[27:28], null, s8, v137, 0
	v_mad_co_u64_u32 v[23:24], null, s9, v126, v[8:9]
	v_mov_b32_e32 v8, v26
	v_add_co_u32 v38, s0, v2, v19
	s_wait_alu 0xf1ff
	v_add_co_ci_u32_e64 v39, s0, v3, v20, s0
	v_lshlrev_b64_e32 v[19:20], 3, v[30:31]
	v_mad_co_u64_u32 v[29:30], null, s9, v123, v[8:9]
	v_mov_b32_e32 v8, v28
	s_delay_alu instid0(VALU_DEP_3) | instskip(SKIP_1) | instid1(VALU_DEP_4)
	v_add_co_u32 v30, s0, v2, v19
	s_wait_alu 0xf1ff
	v_add_co_ci_u32_e64 v31, s0, v3, v20, s0
	v_lshlrev_b64_e32 v[19:20], 3, v[22:23]
	v_mad_co_u64_u32 v[21:22], null, s9, v137, v[8:9]
	v_mad_co_u64_u32 v[22:23], null, s8, v134, 0
	v_mov_b32_e32 v26, v29
	s_delay_alu instid0(VALU_DEP_4) | instskip(SKIP_2) | instid1(VALU_DEP_3)
	v_add_co_u32 v60, s0, v2, v19
	s_wait_alu 0xf1ff
	v_add_co_ci_u32_e64 v61, s0, v3, v20, s0
	v_lshlrev_b64_e32 v[19:20], 3, v[25:26]
	v_mad_co_u64_u32 v[24:25], null, s8, v131, 0
	v_mov_b32_e32 v8, v23
	v_dual_mov_b32 v28, v21 :: v_dual_add_nc_u32 v21, 0x960, v52
	s_delay_alu instid0(VALU_DEP_4) | instskip(NEXT) | instid1(VALU_DEP_3)
	v_add_co_u32 v65, s0, v2, v19
	v_mad_co_u64_u32 v[62:63], null, s9, v134, v[8:9]
	v_mov_b32_e32 v8, v25
	s_delay_alu instid0(VALU_DEP_4)
	v_mad_co_u64_u32 v[63:64], null, s8, v21, 0
	s_wait_alu 0xf1ff
	v_add_co_ci_u32_e64 v66, s0, v3, v20, s0
	v_lshlrev_b64_e32 v[19:20], 3, v[27:28]
	v_or_b32_e32 v28, 0xa80, v52
	v_mad_co_u64_u32 v[25:26], null, s9, v131, v[8:9]
	v_dual_mov_b32 v23, v62 :: v_dual_mov_b32 v8, v64
	s_delay_alu instid0(VALU_DEP_3)
	v_mad_co_u64_u32 v[26:27], null, s8, v28, 0
	v_add_co_u32 v67, s0, v2, v19
	s_wait_alu 0xf1ff
	v_add_co_ci_u32_e64 v68, s0, v3, v20, s0
	v_lshlrev_b64_e32 v[19:20], 3, v[22:23]
	v_mad_co_u64_u32 v[21:22], null, s9, v21, v[8:9]
	v_mov_b32_e32 v8, v27
	s_delay_alu instid0(VALU_DEP_3) | instskip(SKIP_1) | instid1(VALU_DEP_4)
	v_add_co_u32 v69, s0, v2, v19
	s_wait_alu 0xf1ff
	v_add_co_ci_u32_e64 v70, s0, v3, v20, s0
	v_lshlrev_b64_e32 v[19:20], 3, v[24:25]
	v_mad_co_u64_u32 v[22:23], null, s9, v28, v[8:9]
	v_mad_co_u64_u32 v[23:24], null, s8, v44, 0
	v_mov_b32_e32 v64, v21
	s_delay_alu instid0(VALU_DEP_4) | instskip(SKIP_2) | instid1(VALU_DEP_3)
	v_add_co_u32 v71, s0, v2, v19
	s_wait_alu 0xf1ff
	v_add_co_ci_u32_e64 v72, s0, v3, v20, s0
	v_lshlrev_b64_e32 v[19:20], 3, v[63:64]
	v_mov_b32_e32 v27, v22
	v_mad_co_u64_u32 v[21:22], null, s8, v42, 0
	v_mad_co_u64_u32 v[28:29], null, s8, v128, 0
	v_mov_b32_e32 v8, v24
	v_add_co_u32 v62, s0, v2, v19
	s_wait_alu 0xf1ff
	v_add_co_ci_u32_e64 v63, s0, v3, v20, s0
	s_delay_alu instid0(VALU_DEP_3) | instskip(SKIP_4) | instid1(VALU_DEP_4)
	v_mad_co_u64_u32 v[24:25], null, s9, v44, v[8:9]
	v_mov_b32_e32 v8, v22
	v_lshlrev_b64_e32 v[19:20], 3, v[26:27]
	v_mov_b32_e32 v22, v29
	v_mov_b32_e32 v64, v125
	v_mad_co_u64_u32 v[25:26], null, s9, v42, v[8:9]
	s_delay_alu instid0(VALU_DEP_3)
	v_mad_co_u64_u32 v[26:27], null, s9, v128, v[22:23]
	v_add_co_u32 v73, s0, v2, v19
	s_wait_alu 0xf1ff
	v_add_co_ci_u32_e64 v74, s0, v3, v20, s0
	v_lshlrev_b64_e32 v[19:20], 3, v[23:24]
	v_mad_co_u64_u32 v[23:24], null, s8, v125, 0
	v_dual_mov_b32 v22, v25 :: v_dual_mov_b32 v29, v26
	v_mad_co_u64_u32 v[25:26], null, s8, v122, 0
	s_delay_alu instid0(VALU_DEP_4)
	v_add_co_u32 v75, s0, v2, v19
	s_wait_alu 0xf1ff
	v_add_co_ci_u32_e64 v76, s0, v3, v20, s0
	v_mad_co_u64_u32 v[19:20], null, s8, v138, 0
	v_mov_b32_e32 v8, v24
	v_mov_b32_e32 v24, v26
	v_lshlrev_b64_e32 v[21:22], 3, v[21:22]
	s_delay_alu instid0(VALU_DEP_3) | instskip(SKIP_1) | instid1(VALU_DEP_4)
	v_mad_co_u64_u32 v[26:27], null, s9, v125, v[8:9]
	v_mov_b32_e32 v8, v20
	v_mad_co_u64_u32 v[77:78], null, s9, v122, v[24:25]
	s_delay_alu instid0(VALU_DEP_4) | instskip(NEXT) | instid1(VALU_DEP_3)
	v_add_co_u32 v78, s0, v2, v21
	v_mad_co_u64_u32 v[20:21], null, s9, v138, v[8:9]
	v_lshlrev_b64_e32 v[27:28], 3, v[28:29]
	s_wait_alu 0xf1ff
	v_add_co_ci_u32_e64 v79, s0, v3, v22, s0
	v_mov_b32_e32 v24, v26
	v_mad_co_u64_u32 v[21:22], null, s8, v135, 0
	s_delay_alu instid0(VALU_DEP_4) | instskip(NEXT) | instid1(VALU_DEP_3)
	v_add_co_u32 v81, s0, v2, v27
	v_lshlrev_b64_e32 v[23:24], 3, v[23:24]
	v_mov_b32_e32 v26, v77
	s_wait_alu 0xf1ff
	v_add_co_ci_u32_e64 v82, s0, v3, v28, s0
	v_mad_co_u64_u32 v[27:28], null, s8, v130, 0
	v_mov_b32_e32 v8, v22
	v_add_co_u32 v83, s0, v2, v23
	v_lshlrev_b64_e32 v[25:26], 3, v[25:26]
	s_wait_alu 0xf1ff
	v_add_co_ci_u32_e64 v84, s0, v3, v24, s0
	v_mad_co_u64_u32 v[23:24], null, s9, v135, v[8:9]
	v_mov_b32_e32 v8, v86
	v_mov_b32_e32 v22, v28
	v_add_co_u32 v110, s0, v2, v25
	v_lshlrev_b64_e32 v[19:20], 3, v[19:20]
	s_delay_alu instid0(VALU_DEP_4) | instskip(NEXT) | instid1(VALU_DEP_4)
	v_mad_co_u64_u32 v[24:25], null, s9, v59, v[8:9]
	v_mad_co_u64_u32 v[28:29], null, s9, v130, v[22:23]
	v_dual_mov_b32 v22, v23 :: v_dual_mov_b32 v23, v88
	s_wait_alu 0xf1ff
	v_add_co_ci_u32_e64 v111, s0, v3, v26, s0
	v_add_co_u32 v112, s0, v2, v19
	s_delay_alu instid0(VALU_DEP_3)
	v_mad_co_u64_u32 v[25:26], null, s9, v41, v[23:24]
	v_lshlrev_b64_e32 v[21:22], 3, v[21:22]
	s_wait_alu 0xf1ff
	v_add_co_ci_u32_e64 v113, s0, v3, v20, s0
	v_lshlrev_b64_e32 v[19:20], 3, v[27:28]
	v_dual_mov_b32 v86, v24 :: v_dual_mov_b32 v41, v53
	s_delay_alu instid0(VALU_DEP_4)
	v_add_co_u32 v114, s0, v2, v21
	v_mov_b32_e32 v88, v25
	s_wait_alu 0xf1ff
	v_add_co_ci_u32_e64 v115, s0, v3, v22, s0
	v_lshlrev_b64_e32 v[21:22], 3, v[85:86]
	v_add_co_u32 v85, s0, v2, v19
	s_wait_alu 0xf1ff
	v_add_co_ci_u32_e64 v86, s0, v3, v20, s0
	v_lshlrev_b64_e32 v[19:20], 3, v[87:88]
	s_delay_alu instid0(VALU_DEP_4) | instskip(SKIP_3) | instid1(VALU_DEP_4)
	v_add_co_u32 v116, s0, v2, v21
	s_wait_alu 0xf1ff
	v_add_co_ci_u32_e64 v117, s0, v3, v22, s0
	v_mov_b32_e32 v87, v46
	v_add_co_u32 v118, s0, v2, v19
	s_wait_alu 0xf1ff
	v_add_co_ci_u32_e64 v119, s0, v3, v20, s0
	s_clause 0x1d
	global_load_b64 v[19:20], v[0:1], off
	global_load_b64 v[88:89], v[4:5], off
	;; [unrolled: 1-line block ×30, first 2 shown]
	v_dual_mov_b32 v63, v126 :: v_dual_mov_b32 v72, v41
	v_mov_b32_e32 v74, v43
	v_mov_b32_e32 v76, v47
	;; [unrolled: 1-line block ×4, first 2 shown]
	v_dual_mov_b32 v84, v49 :: v_dual_mov_b32 v71, v40
	v_mov_b32_e32 v73, v42
	v_mov_b32_e32 v75, v46
	;; [unrolled: 1-line block ×4, first 2 shown]
	v_dual_mov_b32 v83, v48 :: v_dual_mov_b32 v70, v122
	v_mov_b32_e32 v68, v123
	v_mov_b32_e32 v66, v124
	v_dual_mov_b32 v62, v127 :: v_dual_mov_b32 v61, v128
	v_dual_mov_b32 v60, v129 :: v_dual_mov_b32 v85, v40
	;; [unrolled: 1-line block ×3, first 2 shown]
.LBB0_13:
	s_or_b32 exec_lo, exec_lo, s1
	s_wait_loadcnt 0x15
	v_sub_f32_e32 v45, v91, v95
	v_add_f32_e32 v39, v96, v92
	s_wait_loadcnt 0x14
	v_dual_sub_f32 v47, v97, v93 :: v_dual_sub_f32 v110, v98, v100
	v_dual_sub_f32 v49, v90, v96 :: v_dual_sub_f32 v112, v100, v98
	s_delay_alu instid0(VALU_DEP_3)
	v_fma_f32 v41, -0.5, v39, v19
	v_sub_f32_e32 v39, v94, v92
	v_add_f32_e32 v51, v90, v94
	v_sub_f32_e32 v69, v92, v94
	s_wait_loadcnt 0xb
	v_dual_sub_f32 v117, v22, v26 :: v_dual_fmamk_f32 v86, v45, 0x3f737871, v41
	v_add_f32_e32 v43, v19, v90
	v_add_f32_e32 v49, v49, v39
	v_fmac_f32_e32 v19, -0.5, v51
	s_delay_alu instid0(VALU_DEP_4) | instskip(NEXT) | instid1(VALU_DEP_4)
	v_dual_add_f32 v39, v100, v102 :: v_dual_fmac_f32 v86, 0x3f167918, v47
	v_add_f32_e32 v43, v43, v96
	s_wait_loadcnt 0x6
	v_add_f32_e32 v163, v105, v4
	v_cmp_gt_u32_e64 s0, 60, v52
	v_fma_f32 v39, -0.5, v39, v88
	v_fmac_f32_e32 v86, 0x3e9e377a, v49
	v_fmac_f32_e32 v41, 0xbf737871, v45
	v_add_f32_e32 v51, v43, v92
	v_sub_f32_e32 v43, v109, v99
	v_sub_f32_e32 v65, v96, v90
	v_fmamk_f32 v67, v47, 0xbf737871, v19
	v_fmac_f32_e32 v41, 0xbf167918, v47
	v_dual_fmac_f32 v19, 0x3f737871, v47 :: v_dual_sub_f32 v118, v29, v21
	s_delay_alu instid0(VALU_DEP_4) | instskip(SKIP_2) | instid1(VALU_DEP_4)
	v_add_f32_e32 v47, v65, v69
	v_add_f32_e32 v69, v108, v88
	v_fmac_f32_e32 v67, 0x3f167918, v45
	v_fmac_f32_e32 v19, 0xbf167918, v45
	v_fmamk_f32 v45, v43, 0x3f737871, v39
	v_sub_f32_e32 v65, v103, v101
	v_add_f32_e32 v69, v102, v69
	v_fmac_f32_e32 v67, 0x3e9e377a, v47
	v_fmac_f32_e32 v19, 0x3e9e377a, v47
	;; [unrolled: 1-line block ×4, first 2 shown]
	v_add_f32_e32 v69, v100, v69
	v_dual_sub_f32 v111, v102, v108 :: v_dual_sub_f32 v120, v23, v25
	v_dual_fmac_f32 v39, 0xbf737871, v43 :: v_dual_add_f32 v158, v107, v28
	s_delay_alu instid0(VALU_DEP_3) | instskip(SKIP_1) | instid1(VALU_DEP_3)
	v_add_f32_e32 v69, v98, v69
	v_add_f32_e32 v49, v98, v108
	v_dual_sub_f32 v90, v90, v94 :: v_dual_fmac_f32 v39, 0xbf167918, v65
	s_delay_alu instid0(VALU_DEP_2) | instskip(NEXT) | instid1(VALU_DEP_1)
	v_dual_fmac_f32 v88, -0.5, v49 :: v_dual_sub_f32 v49, v108, v102
	v_dual_sub_f32 v108, v108, v98 :: v_dual_fmamk_f32 v47, v65, 0xbf737871, v88
	v_fmac_f32_e32 v88, 0x3f737871, v65
	s_delay_alu instid0(VALU_DEP_3)
	v_add_f32_e32 v49, v110, v49
	v_add_f32_e32 v65, v112, v111
	v_sub_f32_e32 v110, v109, v103
	v_fmac_f32_e32 v47, 0x3f167918, v43
	v_fmac_f32_e32 v88, 0xbf167918, v43
	;; [unrolled: 1-line block ×4, first 2 shown]
	v_add_f32_e32 v49, v101, v103
	v_fmac_f32_e32 v47, 0x3e9e377a, v65
	v_fmac_f32_e32 v88, 0x3e9e377a, v65
	v_add_f32_e32 v65, v99, v109
	v_add_f32_e32 v43, v109, v89
	v_fma_f32 v49, -0.5, v49, v89
	v_dual_sub_f32 v111, v99, v101 :: v_dual_sub_f32 v112, v102, v100
	s_delay_alu instid0(VALU_DEP_4) | instskip(SKIP_4) | instid1(VALU_DEP_3)
	v_fmac_f32_e32 v89, -0.5, v65
	v_sub_f32_e32 v65, v103, v109
	v_sub_f32_e32 v109, v101, v99
	v_dual_mul_f32 v102, 0x3e9e377a, v47 :: v_dual_add_f32 v115, v51, v94
	v_dual_fmamk_f32 v51, v108, 0xbf737871, v49 :: v_dual_add_f32 v110, v111, v110
	v_add_f32_e32 v109, v109, v65
	v_fmamk_f32 v65, v112, 0x3f737871, v89
	v_fmac_f32_e32 v89, 0xbf737871, v112
	s_delay_alu instid0(VALU_DEP_4)
	v_fmac_f32_e32 v51, 0xbf167918, v112
	v_fmac_f32_e32 v49, 0x3f737871, v108
	v_mul_f32_e32 v100, 0x3f4f1bbd, v45
	v_fmac_f32_e32 v65, 0xbf167918, v108
	v_fmac_f32_e32 v89, 0x3f167918, v108
	;; [unrolled: 1-line block ×4, first 2 shown]
	s_delay_alu instid0(VALU_DEP_4) | instskip(NEXT) | instid1(VALU_DEP_4)
	v_dual_mul_f32 v108, 0x3e9e377a, v88 :: v_dual_fmac_f32 v65, 0x3e9e377a, v109
	v_fmac_f32_e32 v89, 0x3e9e377a, v109
	s_delay_alu instid0(VALU_DEP_4) | instskip(NEXT) | instid1(VALU_DEP_4)
	v_fmac_f32_e32 v100, 0x3f167918, v51
	v_dual_fmac_f32 v49, 0x3e9e377a, v110 :: v_dual_sub_f32 v116, v115, v69
	s_delay_alu instid0(VALU_DEP_4) | instskip(NEXT) | instid1(VALU_DEP_4)
	v_fmac_f32_e32 v102, 0x3f737871, v65
	v_fma_f32 v98, 0x3f737871, v89, -v108
	s_delay_alu instid0(VALU_DEP_4)
	v_dual_add_f32 v108, v115, v69 :: v_dual_add_f32 v109, v86, v100
	v_sub_f32_e32 v110, v86, v100
	v_mul_f32_e32 v86, 0x3f4f1bbd, v39
	v_mul_u32_u24_e32 v100, 10, v52
	v_add_f32_e32 v69, v29, v23
	v_sub_f32_e32 v111, v67, v102
	v_add_f32_e32 v113, v67, v102
	v_fma_f32 v67, 0x3f167918, v49, -v86
	v_lshl_add_u32 v112, v100, 2, 0
	v_sub_f32_e32 v86, v21, v29
	v_sub_f32_e32 v100, v25, v23
	v_add_f32_e32 v102, v21, v25
	v_fma_f32 v69, -0.5, v69, v13
	v_sub_f32_e32 v94, v95, v93
	s_delay_alu instid0(VALU_DEP_4) | instskip(NEXT) | instid1(VALU_DEP_4)
	v_add_f32_e32 v86, v86, v100
	v_dual_add_f32 v100, v13, v21 :: v_dual_fmac_f32 v13, -0.5, v102
	s_delay_alu instid0(VALU_DEP_4) | instskip(SKIP_2) | instid1(VALU_DEP_3)
	v_dual_sub_f32 v102, v30, v24 :: v_dual_fmamk_f32 v119, v117, 0x3f737871, v69
	v_dual_fmac_f32 v69, 0xbf737871, v117 :: v_dual_add_f32 v114, v19, v98
	v_add_f32_e32 v115, v41, v67
	v_fmamk_f32 v121, v102, 0xbf737871, v13
	v_fmac_f32_e32 v13, 0x3f737871, v102
	v_fmac_f32_e32 v119, 0x3f167918, v102
	v_dual_fmac_f32 v69, 0xbf167918, v102 :: v_dual_add_f32 v102, v118, v120
	v_dual_sub_f32 v118, v41, v67 :: v_dual_add_f32 v41, v35, v37
	v_fmac_f32_e32 v121, 0x3f167918, v117
	v_fmac_f32_e32 v13, 0xbf167918, v117
	v_sub_f32_e32 v117, v19, v98
	v_fmac_f32_e32 v119, 0x3e9e377a, v86
	v_fmac_f32_e32 v69, 0x3e9e377a, v86
	v_fma_f32 v86, -0.5, v41, v27
	v_sub_f32_e32 v19, v107, v32
	v_sub_f32_e32 v41, v106, v37
	v_sub_f32_e32 v67, v31, v35
	v_add_f32_e32 v98, v31, v106
	v_fmac_f32_e32 v121, 0x3e9e377a, v102
	v_fmac_f32_e32 v13, 0x3e9e377a, v102
	v_fmamk_f32 v150, v19, 0x3f737871, v86
	v_sub_f32_e32 v102, v38, v36
	v_dual_fmac_f32 v86, 0xbf737871, v19 :: v_dual_add_f32 v41, v67, v41
	v_add_f32_e32 v67, v106, v27
	v_fmac_f32_e32 v27, -0.5, v98
	s_delay_alu instid0(VALU_DEP_4) | instskip(NEXT) | instid1(VALU_DEP_4)
	v_fmac_f32_e32 v150, 0x3f167918, v102
	v_fmac_f32_e32 v86, 0xbf167918, v102
	v_sub_f32_e32 v98, v37, v106
	s_delay_alu instid0(VALU_DEP_4) | instskip(SKIP_2) | instid1(VALU_DEP_3)
	v_dual_sub_f32 v120, v35, v31 :: v_dual_fmamk_f32 v151, v102, 0xbf737871, v27
	v_fmac_f32_e32 v27, 0x3f737871, v102
	v_fmac_f32_e32 v150, 0x3e9e377a, v41
	v_dual_fmac_f32 v86, 0x3e9e377a, v41 :: v_dual_add_f32 v41, v120, v98
	s_delay_alu instid0(VALU_DEP_4) | instskip(NEXT) | instid1(VALU_DEP_4)
	v_dual_fmac_f32 v151, 0x3f167918, v19 :: v_dual_add_f32 v98, v36, v38
	v_fmac_f32_e32 v27, 0xbf167918, v19
	v_dual_add_f32 v19, v32, v107 :: v_dual_sub_f32 v102, v107, v38
	v_sub_f32_e32 v120, v32, v36
	s_delay_alu instid0(VALU_DEP_4) | instskip(SKIP_1) | instid1(VALU_DEP_4)
	v_fma_f32 v157, -0.5, v98, v28
	v_sub_f32_e32 v98, v106, v31
	v_fmac_f32_e32 v28, -0.5, v19
	v_sub_f32_e32 v19, v37, v35
	v_dual_sub_f32 v106, v38, v107 :: v_dual_sub_f32 v107, v36, v32
	s_delay_alu instid0(VALU_DEP_4) | instskip(NEXT) | instid1(VALU_DEP_3)
	v_fmamk_f32 v159, v98, 0xbf737871, v157
	v_dual_fmac_f32 v157, 0x3f737871, v98 :: v_dual_fmamk_f32 v160, v19, 0x3f737871, v28
	v_fmac_f32_e32 v28, 0xbf737871, v19
	s_delay_alu instid0(VALU_DEP_3) | instskip(NEXT) | instid1(VALU_DEP_3)
	v_dual_add_f32 v102, v120, v102 :: v_dual_fmac_f32 v159, 0xbf167918, v19
	v_fmac_f32_e32 v157, 0x3f167918, v19
	v_add_f32_e32 v19, v107, v106
	v_fmac_f32_e32 v160, 0xbf167918, v98
	v_add_f32_e32 v100, v100, v29
	v_dual_fmac_f32 v28, 0x3f167918, v98 :: v_dual_add_f32 v37, v37, v67
	v_mul_f32_e32 v47, 0xbf737871, v47
	v_fmac_f32_e32 v27, 0x3e9e377a, v41
	v_fmac_f32_e32 v151, 0x3e9e377a, v41
	v_add_f32_e32 v41, v100, v23
	v_dual_fmac_f32 v159, 0x3e9e377a, v102 :: v_dual_fmac_f32 v160, 0x3e9e377a, v19
	v_dual_fmac_f32 v28, 0x3e9e377a, v19 :: v_dual_fmac_f32 v47, 0x3e9e377a, v65
	v_add_f32_e32 v19, v35, v37
	v_mul_f32_e32 v37, 0x3f4f1bbd, v150
	v_mul_f32_e32 v67, 0x3e9e377a, v27
	v_add_f32_e32 v35, v41, v25
	v_mul_f32_e32 v41, 0x3e9e377a, v151
	v_add_f32_e32 v19, v31, v19
	v_fmac_f32_e32 v37, 0x3f167918, v159
	v_fmac_f32_e32 v157, 0x3e9e377a, v102
	v_fma_f32 v31, 0x3f737871, v28, -v67
	v_mul_f32_e32 v67, 0x3f4f1bbd, v86
	v_fmac_f32_e32 v41, 0x3f737871, v160
	v_dual_add_f32 v107, v119, v37 :: v_dual_mul_f32 v28, 0x3e9e377a, v28
	v_sub_f32_e32 v119, v119, v37
	v_mul_i32_i24_e32 v37, 10, v58
	v_fma_f32 v67, 0x3f167918, v157, -v67
	v_add_f32_e32 v106, v35, v19
	v_sub_f32_e32 v142, v35, v19
	s_wait_loadcnt 0x3
	v_add_f32_e32 v19, v15, v9
	v_sub_f32_e32 v120, v121, v41
	v_add_f32_e32 v139, v121, v41
	v_add_f32_e32 v140, v13, v31
	v_lshl_add_u32 v41, v37, 2, 0
	v_add_f32_e32 v141, v69, v67
	ds_store_2addr_b64 v112, v[108:109], v[113:114] offset1:1
	ds_store_2addr_b64 v112, v[115:116], v[110:111] offset0:2 offset1:3
	ds_store_b64 v112, v[117:118] offset:32
	ds_store_2addr_b64 v41, v[106:107], v[139:140] offset1:1
	ds_store_2addr_b64 v41, v[141:142], v[119:120] offset0:2 offset1:3
	s_wait_loadcnt 0x1
	v_dual_sub_f32 v106, v13, v31 :: v_dual_sub_f32 v31, v7, v9
	v_fma_f32 v19, -0.5, v19, v0
	v_sub_f32_e32 v35, v6, v8
	v_sub_f32_e32 v21, v21, v25
	v_add_f32_e32 v37, v5, v7
	v_sub_f32_e32 v25, v26, v24
	v_sub_f32_e32 v13, v5, v15
	v_sub_f32_e32 v107, v69, v67
	v_fmamk_f32 v67, v35, 0x3f737871, v19
	v_sub_f32_e32 v69, v16, v10
	v_fmac_f32_e32 v19, 0xbf737871, v35
	v_add_f32_e32 v13, v13, v31
	v_add_f32_e32 v31, v0, v5
	v_fmac_f32_e32 v0, -0.5, v37
	v_dual_sub_f32 v37, v15, v5 :: v_dual_sub_f32 v98, v9, v7
	v_fmac_f32_e32 v67, 0x3f167918, v69
	v_fmac_f32_e32 v19, 0xbf167918, v69
	s_delay_alu instid0(VALU_DEP_4)
	v_fmamk_f32 v100, v69, 0xbf737871, v0
	v_fmac_f32_e32 v0, 0x3f737871, v69
	v_add_f32_e32 v69, v17, v33
	v_add_f32_e32 v37, v37, v98
	v_fmac_f32_e32 v67, 0x3e9e377a, v13
	v_fmac_f32_e32 v100, 0x3f167918, v35
	;; [unrolled: 1-line block ×4, first 2 shown]
	v_fma_f32 v13, -0.5, v69, v3
	s_wait_loadcnt 0x0
	v_sub_f32_e32 v35, v105, v12
	v_dual_add_f32 v31, v31, v15 :: v_dual_fmac_f32 v100, 0x3e9e377a, v37
	v_fmac_f32_e32 v0, 0x3e9e377a, v37
	v_sub_f32_e32 v37, v104, v33
	v_sub_f32_e32 v69, v11, v17
	v_dual_fmamk_f32 v161, v35, 0x3f737871, v13 :: v_dual_sub_f32 v98, v34, v18
	v_dual_fmac_f32 v13, 0xbf737871, v35 :: v_dual_add_f32 v102, v11, v104
	v_add_f32_e32 v31, v31, v9
	s_delay_alu instid0(VALU_DEP_4)
	v_add_f32_e32 v37, v69, v37
	v_add_f32_e32 v69, v104, v3
	v_sub_f32_e32 v9, v15, v9
	v_fmac_f32_e32 v13, 0xbf167918, v98
	v_fmac_f32_e32 v3, -0.5, v102
	v_add_f32_e32 v31, v31, v7
	v_sub_f32_e32 v5, v5, v7
	v_sub_f32_e32 v7, v8, v10
	v_fmac_f32_e32 v161, 0x3f167918, v98
	v_fmac_f32_e32 v13, 0x3e9e377a, v37
	v_sub_f32_e32 v15, v16, v6
	ds_store_b64 v41, v[106:107] offset:32
	v_dual_sub_f32 v102, v33, v104 :: v_dual_fmac_f32 v161, 0x3e9e377a, v37
	v_fmamk_f32 v37, v98, 0xbf737871, v3
	v_dual_fmac_f32 v3, 0x3f737871, v98 :: v_dual_sub_f32 v106, v17, v11
	v_dual_add_f32 v107, v18, v34 :: v_dual_sub_f32 v104, v104, v11
	s_delay_alu instid0(VALU_DEP_3) | instskip(NEXT) | instid1(VALU_DEP_3)
	v_fmac_f32_e32 v37, 0x3f167918, v35
	v_fmac_f32_e32 v3, 0xbf167918, v35
	s_delay_alu instid0(VALU_DEP_4) | instskip(SKIP_3) | instid1(VALU_DEP_4)
	v_dual_add_f32 v35, v12, v105 :: v_dual_add_f32 v98, v106, v102
	v_sub_f32_e32 v102, v105, v34
	v_sub_f32_e32 v106, v12, v18
	v_fma_f32 v162, -0.5, v107, v4
	v_dual_fmac_f32 v4, -0.5, v35 :: v_dual_sub_f32 v35, v33, v17
	v_sub_f32_e32 v105, v34, v105
	s_delay_alu instid0(VALU_DEP_4) | instskip(NEXT) | instid1(VALU_DEP_4)
	v_add_f32_e32 v102, v106, v102
	v_fmamk_f32 v164, v104, 0xbf737871, v162
	v_fmac_f32_e32 v162, 0x3f737871, v104
	v_dual_sub_f32 v106, v18, v12 :: v_dual_fmamk_f32 v165, v35, 0x3f737871, v4
	v_fmac_f32_e32 v4, 0xbf737871, v35
	s_delay_alu instid0(VALU_DEP_4) | instskip(NEXT) | instid1(VALU_DEP_3)
	v_fmac_f32_e32 v164, 0xbf167918, v35
	v_dual_fmac_f32 v162, 0x3f167918, v35 :: v_dual_add_f32 v35, v106, v105
	s_delay_alu instid0(VALU_DEP_4) | instskip(NEXT) | instid1(VALU_DEP_4)
	v_fmac_f32_e32 v165, 0xbf167918, v104
	v_fmac_f32_e32 v4, 0x3f167918, v104
	;; [unrolled: 1-line block ×3, first 2 shown]
	v_add_f32_e32 v33, v33, v69
	v_fmac_f32_e32 v3, 0x3e9e377a, v98
	v_dual_fmac_f32 v164, 0x3e9e377a, v102 :: v_dual_fmac_f32 v165, 0x3e9e377a, v35
	s_delay_alu instid0(VALU_DEP_3)
	v_dual_fmac_f32 v4, 0x3e9e377a, v35 :: v_dual_add_f32 v17, v17, v33
	v_mul_f32_e32 v33, 0x3f4f1bbd, v161
	v_mul_f32_e32 v35, 0x3e9e377a, v37
	;; [unrolled: 1-line block ×4, first 2 shown]
	v_add_f32_e32 v11, v11, v17
	v_fmac_f32_e32 v33, 0x3f167918, v164
	v_fmac_f32_e32 v35, 0x3f737871, v165
	v_fma_f32 v17, 0x3f737871, v4, -v69
	v_add_f32_e32 v69, v20, v91
	v_add_f32_e32 v104, v31, v11
	;; [unrolled: 1-line block ×3, first 2 shown]
	v_sub_f32_e32 v106, v67, v33
	v_mul_i32_i24_e32 v67, 10, v56
	v_sub_f32_e32 v107, v100, v35
	v_add_f32_e32 v108, v100, v35
	v_add_f32_e32 v35, v103, v43
	v_sub_f32_e32 v103, v31, v11
	v_lshl_add_u32 v43, v67, 2, 0
	v_add_f32_e32 v31, v69, v97
	v_sub_f32_e32 v67, v96, v92
	v_add_f32_e32 v11, v101, v35
	v_add_f32_e32 v35, v97, v93
	v_dual_sub_f32 v69, v91, v97 :: v_dual_sub_f32 v92, v97, v91
	v_add_f32_e32 v91, v91, v95
	v_add_f32_e32 v31, v31, v93
	s_delay_alu instid0(VALU_DEP_4) | instskip(SKIP_1) | instid1(VALU_DEP_4)
	v_fma_f32 v35, -0.5, v35, v20
	v_sub_f32_e32 v93, v93, v95
	v_dual_add_f32 v69, v69, v94 :: v_dual_fmac_f32 v20, -0.5, v91
	s_delay_alu instid0(VALU_DEP_4) | instskip(NEXT) | instid1(VALU_DEP_4)
	v_add_f32_e32 v31, v31, v95
	v_fmamk_f32 v91, v90, 0xbf737871, v35
	v_fmac_f32_e32 v35, 0x3f737871, v90
	v_add_f32_e32 v11, v99, v11
	v_fmamk_f32 v94, v67, 0x3f737871, v20
	v_fmac_f32_e32 v20, 0xbf737871, v67
	v_fmac_f32_e32 v91, 0xbf167918, v67
	;; [unrolled: 1-line block ×3, first 2 shown]
	s_delay_alu instid0(VALU_DEP_4) | instskip(SKIP_1) | instid1(VALU_DEP_4)
	v_dual_add_f32 v67, v92, v93 :: v_dual_fmac_f32 v94, 0xbf167918, v90
	v_add_f32_e32 v109, v0, v17
	v_fmac_f32_e32 v91, 0x3e9e377a, v69
	s_delay_alu instid0(VALU_DEP_4) | instskip(NEXT) | instid1(VALU_DEP_4)
	v_fmac_f32_e32 v35, 0x3e9e377a, v69
	v_dual_mul_f32 v69, 0x3e9e377a, v89 :: v_dual_fmac_f32 v94, 0x3e9e377a, v67
	v_dual_fmac_f32 v20, 0x3f167918, v90 :: v_dual_add_f32 v113, v31, v11
	v_sub_f32_e32 v118, v31, v11
	s_delay_alu instid0(VALU_DEP_3) | instskip(NEXT) | instid1(VALU_DEP_4)
	v_fma_f32 v166, 0xbf737871, v88, -v69
	v_add_f32_e32 v115, v94, v47
	v_sub_f32_e32 v120, v94, v47
	v_lshl_add_u32 v47, v2, 2, 0
	v_add_f32_e32 v2, v14, v22
	v_dual_sub_f32 v88, v0, v17 :: v_dual_add_f32 v11, v30, v24
	v_sub_f32_e32 v17, v29, v23
	v_sub_f32_e32 v23, v22, v30
	s_delay_alu instid0(VALU_DEP_4)
	v_add_f32_e32 v2, v2, v30
	v_sub_f32_e32 v29, v30, v22
	v_add_f32_e32 v22, v22, v26
	v_fmac_f32_e32 v20, 0x3e9e377a, v67
	v_fma_f32 v11, -0.5, v11, v14
	v_add_f32_e32 v2, v2, v24
	v_sub_f32_e32 v24, v24, v26
	v_fmac_f32_e32 v14, -0.5, v22
	v_add_f32_e32 v116, v20, v166
	v_add_f32_e32 v22, v23, v25
	v_add_f32_e32 v2, v2, v26
	v_fma_f32 v26, 0xbf737871, v27, -v28
	v_fmamk_f32 v27, v21, 0xbf737871, v11
	v_fmac_f32_e32 v11, 0x3f737871, v21
	v_fmamk_f32 v25, v17, 0x3f737871, v14
	v_fmac_f32_e32 v14, 0xbf737871, v17
	s_delay_alu instid0(VALU_DEP_4) | instskip(NEXT) | instid1(VALU_DEP_4)
	v_dual_add_f32 v0, v38, v158 :: v_dual_fmac_f32 v27, 0xbf167918, v17
	v_fmac_f32_e32 v11, 0x3f167918, v17
	s_delay_alu instid0(VALU_DEP_3) | instskip(NEXT) | instid1(VALU_DEP_3)
	v_dual_add_f32 v17, v29, v24 :: v_dual_fmac_f32 v14, 0x3f167918, v21
	v_dual_add_f32 v0, v36, v0 :: v_dual_fmac_f32 v25, 0xbf167918, v21
	v_mul_f32_e32 v24, 0xbf737871, v151
	v_mul_f32_e32 v28, 0xbf167918, v150
	;; [unrolled: 1-line block ×3, first 2 shown]
	v_fmac_f32_e32 v14, 0x3e9e377a, v17
	v_dual_add_f32 v0, v32, v0 :: v_dual_fmac_f32 v27, 0x3e9e377a, v22
	v_fmac_f32_e32 v11, 0x3e9e377a, v22
	v_dual_fmac_f32 v25, 0x3e9e377a, v17 :: v_dual_fmac_f32 v24, 0x3e9e377a, v160
	v_fmac_f32_e32 v28, 0x3f4f1bbd, v159
	v_fma_f32 v17, 0xbf167918, v86, -v21
	v_add_f32_e32 v22, v14, v26
	v_sub_f32_e32 v23, v14, v26
	v_add_f32_e32 v14, v1, v6
	v_add_f32_e32 v21, v25, v24
	v_sub_f32_e32 v26, v25, v24
	v_sub_f32_e32 v25, v27, v28
	v_add_f32_e32 v28, v27, v28
	v_add_f32_e32 v27, v2, v0
	v_dual_sub_f32 v30, v2, v0 :: v_dual_add_f32 v29, v11, v17
	v_sub_f32_e32 v24, v11, v17
	v_dual_add_f32 v2, v14, v16 :: v_dual_add_f32 v11, v16, v10
	v_sub_f32_e32 v14, v6, v16
	v_add_f32_e32 v6, v6, v8
	v_fmac_f32_e32 v162, 0x3e9e377a, v102
	s_delay_alu instid0(VALU_DEP_4) | instskip(SKIP_3) | instid1(VALU_DEP_4)
	v_add_f32_e32 v2, v2, v10
	v_fma_f32 v11, -0.5, v11, v1
	v_mul_f32_e32 v49, 0x3f4f1bbd, v49
	v_dual_fmac_f32 v1, -0.5, v6 :: v_dual_add_f32 v6, v14, v7
	v_add_f32_e32 v16, v2, v8
	v_mul_f32_e32 v2, 0x3e9e377a, v4
	v_fmamk_f32 v4, v5, 0xbf737871, v11
	v_fmac_f32_e32 v45, 0x3f4f1bbd, v51
	v_fmac_f32_e32 v11, 0x3f737871, v5
	v_fma_f32 v39, 0xbf167918, v39, -v49
	v_mad_i32_i24 v65, 0xffffffdc, v56, v43
	v_fmac_f32_e32 v4, 0xbf167918, v9
	v_add_f32_e32 v114, v91, v45
	v_sub_f32_e32 v119, v91, v45
	v_mad_i32_i24 v45, 0xffffffdc, v52, v112
	v_fmac_f32_e32 v11, 0x3f167918, v9
	v_fmac_f32_e32 v4, 0x3e9e377a, v6
	v_mul_f32_e32 v33, 0x3f4f1bbd, v13
	v_dual_add_f32 v117, v35, v39 :: v_dual_and_b32 v86, 0xffff, v56
	v_lshl_add_u32 v49, v63, 2, 0
	v_mad_i32_i24 v67, 0xffffffdc, v58, v41
	s_delay_alu instid0(VALU_DEP_4)
	v_fma_f32 v33, 0x3f167918, v162, -v33
	v_lshl_add_u32 v141, v79, 2, 0
	v_lshl_add_u32 v142, v87, 2, 0
	v_add_nc_u32_e32 v145, 0x1400, v45
	v_add_nc_u32_e32 v51, 0x1c00, v45
	v_add_f32_e32 v102, v19, v33
	v_sub_f32_e32 v89, v19, v33
	ds_store_2addr_b64 v43, v[104:105], v[108:109] offset1:1
	ds_store_2addr_b64 v43, v[102:103], v[106:107] offset0:2 offset1:3
	ds_store_b64 v43, v[88:89] offset:32
	global_wb scope:SCOPE_SE
	s_wait_dscnt 0x0
	s_barrier_signal -1
	s_barrier_wait -1
	global_inv scope:SCOPE_SE
	v_add_nc_u32_e32 v140, 0x2400, v45
	v_add_nc_u32_e32 v144, 0x80, v45
	;; [unrolled: 1-line block ×7, first 2 shown]
	ds_load_b32 v156, v47
	ds_load_b32 v155, v49
	;; [unrolled: 1-line block ×3, first 2 shown]
	v_add_nc_u32_e32 v147, 0x1a00, v45
	v_add_nc_u32_e32 v143, 0x2800, v45
	ds_load_b32 v153, v65
	ds_load_b32 v154, v67
	;; [unrolled: 1-line block ×3, first 2 shown]
	ds_load_2addr_stride64_b32 v[88:89], v45 offset1:9
	ds_load_2addr_b32 v[96:97], v145 offset0:64 offset1:160
	ds_load_2addr_b32 v[106:107], v51 offset0:128 offset1:224
	ds_load_2addr_b32 v[98:99], v140 offset1:96
	ds_load_2addr_stride64_b32 v[94:95], v144 offset0:13 offset1:16
	ds_load_2addr_b32 v[104:105], v139 offset1:96
	ds_load_2addr_b32 v[90:91], v69 offset0:64 offset1:160
	ds_load_2addr_b32 v[110:111], v148 offset0:32 offset1:128
	;; [unrolled: 1-line block ×6, first 2 shown]
	global_wb scope:SCOPE_SE
	s_wait_dscnt 0x0
	s_barrier_signal -1
	s_barrier_wait -1
	global_inv scope:SCOPE_SE
	ds_store_2addr_b64 v112, v[113:114], v[115:116] offset1:1
	ds_store_2addr_b64 v112, v[117:118], v[119:120] offset0:2 offset1:3
	v_dual_sub_f32 v10, v10, v8 :: v_dual_fmamk_f32 v7, v9, 0x3f737871, v1
	v_fmac_f32_e32 v1, 0xbf737871, v9
	v_fmac_f32_e32 v11, 0x3e9e377a, v6
	v_mul_u32_u24_e32 v6, 0xcccd, v86
	v_and_b32_e32 v120, 0xffff, v79
	v_dual_add_f32 v31, v34, v163 :: v_dual_add_f32 v8, v15, v10
	v_fmac_f32_e32 v7, 0xbf167918, v5
	v_fma_f32 v3, 0xbf737871, v3, -v2
	s_delay_alu instid0(VALU_DEP_3)
	v_dual_fmac_f32 v1, 0x3f167918, v5 :: v_dual_add_f32 v0, v18, v31
	v_mul_f32_e32 v5, 0xbf737871, v37
	v_mul_f32_e32 v2, 0x3f4f1bbd, v162
	v_lshrrev_b32_e32 v157, 19, v6
	v_fmac_f32_e32 v7, 0x3e9e377a, v8
	v_add_f32_e32 v0, v12, v0
	v_fmac_f32_e32 v1, 0x3e9e377a, v8
	v_fmac_f32_e32 v5, 0x3e9e377a, v165
	v_fma_f32 v12, 0xbf167918, v13, -v2
	v_mul_lo_u16 v13, v157, 10
	s_delay_alu instid0(VALU_DEP_4)
	v_dual_mul_f32 v9, 0xbf167918, v161 :: v_dual_add_f32 v2, v1, v3
	v_sub_f32_e32 v3, v1, v3
	v_add_f32_e32 v1, v7, v5
	v_dual_sub_f32 v6, v7, v5 :: v_dual_add_f32 v7, v16, v0
	v_sub_f32_e32 v10, v16, v0
	v_sub_nc_u16 v0, v56, v13
	v_mul_u32_u24_e32 v13, 0xcccd, v120
	v_fmac_f32_e32 v9, 0x3f4f1bbd, v164
	v_dual_sub_f32 v19, v20, v166 :: v_dual_sub_f32 v20, v35, v39
	s_delay_alu instid0(VALU_DEP_4) | instskip(NEXT) | instid1(VALU_DEP_4)
	v_and_b32_e32 v164, 0xffff, v0
	v_lshrrev_b32_e32 v158, 19, v13
	s_delay_alu instid0(VALU_DEP_4)
	v_sub_f32_e32 v5, v4, v9
	v_dual_add_f32 v8, v4, v9 :: v_dual_add_f32 v9, v11, v12
	v_sub_f32_e32 v4, v11, v12
	v_and_b32_e32 v11, 0xff, v52
	v_mul_lo_u16 v12, v158, 10
	ds_store_b64 v112, v[19:20] offset:32
	ds_store_2addr_b64 v41, v[27:28], v[21:22] offset1:1
	ds_store_2addr_b64 v41, v[29:30], v[25:26] offset0:2 offset1:3
	ds_store_b64 v41, v[23:24] offset:32
	ds_store_2addr_b64 v43, v[7:8], v[1:2] offset1:1
	ds_store_2addr_b64 v43, v[9:10], v[5:6] offset0:2 offset1:3
	ds_store_b64 v43, v[3:4] offset:32
	v_mul_lo_u16 v1, 0xcd, v11
	v_sub_nc_u16 v2, v79, v12
	v_mul_u32_u24_e32 v0, 5, v164
	v_and_b32_e32 v151, 0xff, v58
	global_wb scope:SCOPE_SE
	s_wait_dscnt 0x0
	v_lshrrev_b16 v173, 11, v1
	v_and_b32_e32 v162, 0xffff, v2
	v_lshlrev_b32_e32 v36, 3, v0
	v_mul_lo_u16 v4, 0xcd, v151
	s_barrier_signal -1
	v_mul_lo_u16 v0, v173, 10
	v_mul_u32_u24_e32 v1, 5, v162
	s_barrier_wait -1
	global_inv scope:SCOPE_SE
	s_clause 0x1
	global_load_b128 v[175:178], v36, s[4:5]
	global_load_b128 v[16:19], v36, s[4:5] offset:16
	v_sub_nc_u16 v0, v52, v0
	v_lshlrev_b32_e32 v37, 3, v1
	v_lshrrev_b16 v172, 11, v4
	v_and_b32_e32 v150, 0xffff, v87
	s_delay_alu instid0(VALU_DEP_4)
	v_and_b32_e32 v174, 0xff, v0
	s_clause 0x1
	global_load_b128 v[0:3], v37, s[4:5]
	global_load_b128 v[12:15], v37, s[4:5] offset:16
	v_mul_lo_u16 v5, v172, 10
	v_mul_u32_u24_e32 v9, 0xcccd, v150
	v_mul_u32_u24_e32 v4, 5, v174
	s_delay_alu instid0(VALU_DEP_3) | instskip(NEXT) | instid1(VALU_DEP_3)
	v_sub_nc_u16 v8, v58, v5
	v_lshrrev_b32_e32 v169, 19, v9
	s_delay_alu instid0(VALU_DEP_3) | instskip(NEXT) | instid1(VALU_DEP_3)
	v_lshlrev_b32_e32 v20, 3, v4
	v_and_b32_e32 v171, 0xff, v8
	s_clause 0x1
	global_load_b128 v[4:7], v20, s[4:5]
	global_load_b128 v[32:35], v20, s[4:5] offset:16
	v_mul_u32_u24_e32 v8, 5, v171
	s_delay_alu instid0(VALU_DEP_1) | instskip(SKIP_3) | instid1(VALU_DEP_1)
	v_lshlrev_b32_e32 v112, 3, v8
	v_mul_lo_u16 v8, v169, 10
	global_load_b128 v[24:27], v112, s[4:5] offset:16
	v_sub_nc_u16 v8, v87, v8
	v_and_b32_e32 v168, 0xffff, v8
	s_delay_alu instid0(VALU_DEP_1) | instskip(NEXT) | instid1(VALU_DEP_1)
	v_mul_u32_u24_e32 v8, 5, v168
	v_lshlrev_b32_e32 v118, 3, v8
	s_clause 0x7
	global_load_b128 v[8:11], v118, s[4:5] offset:16
	global_load_b64 v[38:39], v20, s[4:5] offset:32
	global_load_b128 v[28:31], v118, s[4:5]
	global_load_b128 v[20:23], v112, s[4:5]
	global_load_b64 v[112:113], v112, s[4:5] offset:32
	global_load_b64 v[114:115], v36, s[4:5] offset:32
	;; [unrolled: 1-line block ×4, first 2 shown]
	ds_load_2addr_b32 v[166:167], v148 offset0:32 offset1:128
	ds_load_2addr_b32 v[179:180], v149 offset0:128 offset1:224
	s_wait_loadcnt_dscnt 0xe01
	v_mul_f32_e32 v118, v166, v176
	s_wait_dscnt 0x0
	v_dual_mul_f32 v160, v110, v176 :: v_dual_mul_f32 v119, v179, v178
	ds_load_b32 v176, v47
	v_mul_f32_e32 v165, v108, v178
	ds_load_b32 v178, v49
	v_fma_f32 v161, v110, v175, -v118
	v_fmac_f32_e32 v160, v166, v175
	v_fma_f32 v166, v108, v177, -v119
	s_wait_loadcnt 0xc
	v_mul_f32_e32 v108, v167, v1
	ds_load_2addr_b32 v[118:119], v145 offset0:64 offset1:160
	v_mul_f32_e32 v159, v111, v1
	v_mul_f32_e32 v163, v180, v3
	;; [unrolled: 1-line block ×3, first 2 shown]
	v_fma_f32 v1, v111, v0, -v108
	ds_load_2addr_b32 v[110:111], v51 offset0:128 offset1:224
	v_fmac_f32_e32 v159, v167, v0
	v_fma_f32 v163, v109, v2, -v163
	ds_load_b32 v167, v141
	ds_load_b32 v0, v142
	;; [unrolled: 1-line block ×4, first 2 shown]
	ds_load_2addr_b32 v[108:109], v139 offset1:96
	v_fmac_f32_e32 v165, v179, v177
	v_fmac_f32_e32 v3, v180, v2
	s_wait_loadcnt 0xa
	v_mul_f32_e32 v179, v156, v5
	s_wait_dscnt 0x8
	v_mul_f32_e32 v177, v176, v5
	v_mul_f32_e32 v181, v155, v7
	s_wait_dscnt 0x7
	v_mul_f32_e32 v5, v178, v7
	v_fmac_f32_e32 v179, v176, v4
	v_fma_f32 v2, v156, v4, -v177
	v_fmac_f32_e32 v181, v178, v6
	s_delay_alu instid0(VALU_DEP_4)
	v_fma_f32 v155, v155, v6, -v5
	s_wait_loadcnt_dscnt 0x906
	v_mul_f32_e32 v6, v119, v33
	v_mul_f32_e32 v33, v97, v33
	ds_load_2addr_b32 v[4:5], v146 offset0:64 offset1:160
	s_wait_dscnt 0x6
	v_mul_f32_e32 v156, v110, v35
	v_mul_f32_e32 v35, v106, v35
	v_fma_f32 v97, v97, v32, -v6
	v_fmac_f32_e32 v33, v119, v32
	s_wait_loadcnt 0x8
	v_mul_f32_e32 v32, v111, v27
	v_mul_f32_e32 v27, v107, v27
	ds_load_2addr_b32 v[6:7], v147 offset0:64 offset1:160
	v_fma_f32 v106, v106, v34, -v156
	v_fmac_f32_e32 v35, v110, v34
	v_fma_f32 v32, v107, v26, -v32
	s_wait_dscnt 0x2
	v_dual_mul_f32 v34, v108, v25 :: v_dual_fmac_f32 v27, v111, v26
	v_mul_f32_e32 v107, v104, v25
	ds_load_2addr_b32 v[25:26], v140 offset1:96
	v_mul_f32_e32 v110, v109, v17
	v_fma_f32 v34, v104, v24, -v34
	v_mul_f32_e32 v17, v105, v17
	v_fmac_f32_e32 v107, v108, v24
	s_wait_dscnt 0x2
	v_mul_f32_e32 v104, v4, v19
	v_mul_f32_e32 v19, v102, v19
	v_fma_f32 v24, v105, v16, -v110
	v_fmac_f32_e32 v17, v109, v16
	v_mul_f32_e32 v16, v5, v15
	v_fma_f32 v119, v102, v18, -v104
	v_dual_mul_f32 v102, v100, v13 :: v_dual_mul_f32 v15, v103, v15
	s_wait_dscnt 0x1
	v_dual_fmac_f32 v19, v4, v18 :: v_dual_mul_f32 v18, v6, v13
	v_fma_f32 v16, v103, v14, -v16
	s_delay_alu instid0(VALU_DEP_3)
	v_dual_fmac_f32 v102, v6, v12 :: v_dual_fmac_f32 v15, v5, v14
	ds_load_2addr_stride64_b32 v[4:5], v144 offset0:13 offset1:16
	v_fma_f32 v18, v100, v12, -v18
	s_wait_loadcnt_dscnt 0x601
	v_mul_f32_e32 v6, v26, v39
	v_mul_f32_e32 v39, v99, v39
	;; [unrolled: 1-line block ×4, first 2 shown]
	ds_load_2addr_stride64_b32 v[11:12], v45 offset1:9
	v_fmac_f32_e32 v39, v26, v38
	v_mul_f32_e32 v13, v7, v9
	v_mul_f32_e32 v9, v101, v9
	s_wait_loadcnt 0x5
	v_dual_fmac_f32 v176, v25, v10 :: v_dual_mul_f32 v25, v118, v31
	v_mul_f32_e32 v26, v96, v31
	v_fma_f32 v101, v101, v8, -v13
	ds_load_2addr_b32 v[13:14], v69 offset0:64 offset1:160
	v_fmac_f32_e32 v9, v7, v8
	v_fma_f32 v8, v98, v10, -v100
	v_fma_f32 v10, v99, v38, -v6
	ds_load_2addr_b32 v[6:7], v143 offset0:128 offset1:224
	s_wait_dscnt 0x3
	v_mul_f32_e32 v31, v4, v29
	s_wait_loadcnt 0x4
	v_dual_mul_f32 v29, v94, v29 :: v_dual_mul_f32 v38, v5, v23
	v_fma_f32 v25, v96, v30, -v25
	v_fmac_f32_e32 v26, v118, v30
	v_fma_f32 v30, v94, v28, -v31
	s_delay_alu instid0(VALU_DEP_4)
	v_fmac_f32_e32 v29, v4, v28
	s_wait_dscnt 0x2
	v_dual_mul_f32 v23, v95, v23 :: v_dual_mul_f32 v28, v12, v21
	v_mul_f32_e32 v21, v89, v21
	v_fma_f32 v4, v95, v22, -v38
	s_wait_loadcnt 0x3
	s_delay_alu instid0(VALU_DEP_3)
	v_dual_mul_f32 v38, v90, v113 :: v_dual_fmac_f32 v23, v5, v22
	v_fma_f32 v5, v89, v20, -v28
	v_fmac_f32_e32 v21, v12, v20
	s_wait_dscnt 0x1
	v_mul_f32_e32 v31, v13, v113
	s_wait_loadcnt 0x1
	v_mul_f32_e32 v28, v92, v117
	v_dual_fmac_f32 v38, v13, v112 :: v_dual_mul_f32 v13, v14, v115
	v_mul_f32_e32 v20, v91, v115
	v_fma_f32 v12, v90, v112, -v31
	s_wait_loadcnt_dscnt 0x0
	v_mul_f32_e32 v31, v7, v37
	v_mul_f32_e32 v22, v6, v117
	v_fmac_f32_e32 v28, v6, v116
	v_fma_f32 v13, v91, v114, -v13
	v_fmac_f32_e32 v20, v14, v114
	v_fma_f32 v6, v93, v36, -v31
	v_add_f32_e32 v31, v97, v10
	v_fma_f32 v14, v92, v116, -v22
	v_dual_mul_f32 v22, v93, v37 :: v_dual_add_f32 v37, v155, v106
	v_dual_add_f32 v90, v2, v97 :: v_dual_add_f32 v91, v33, v39
	s_delay_alu instid0(VALU_DEP_4) | instskip(SKIP_1) | instid1(VALU_DEP_4)
	v_fmac_f32_e32 v2, -0.5, v31
	v_sub_f32_e32 v31, v33, v39
	v_dual_add_f32 v89, v88, v155 :: v_dual_fmac_f32 v88, -0.5, v37
	v_add_f32_e32 v33, v179, v33
	v_fmac_f32_e32 v179, -0.5, v91
	v_sub_f32_e32 v37, v97, v10
	v_fmamk_f32 v91, v31, 0x3f5db3d7, v2
	v_fmac_f32_e32 v2, 0xbf5db3d7, v31
	v_sub_f32_e32 v31, v181, v35
	v_add_f32_e32 v117, v159, v102
	v_fmamk_f32 v93, v37, 0xbf5db3d7, v179
	v_fmac_f32_e32 v179, 0x3f5db3d7, v37
	v_mul_f32_e32 v37, -0.5, v2
	v_fmamk_f32 v95, v31, 0x3f5db3d7, v88
	v_fmac_f32_e32 v88, 0xbf5db3d7, v31
	v_fmac_f32_e32 v22, v7, v36
	v_mul_f32_e32 v96, -0.5, v179
	v_fmac_f32_e32 v37, 0x3f5db3d7, v179
	v_add_f32_e32 v89, v89, v106
	v_add_f32_e32 v10, v90, v10
	;; [unrolled: 1-line block ×3, first 2 shown]
	v_fmac_f32_e32 v96, 0xbf5db3d7, v2
	v_and_b32_e32 v2, 0xffff, v173
	v_add_f32_e32 v7, v88, v37
	v_sub_f32_e32 v36, v88, v37
	v_dual_mul_f32 v37, 0x3f5db3d7, v93 :: v_dual_lshlrev_b32 v88, 2, v174
	s_delay_alu instid0(VALU_DEP_4) | instskip(SKIP_1) | instid1(VALU_DEP_3)
	v_mul_u32_u24_e32 v2, 0xf0, v2
	v_dual_add_f32 v94, v11, v181 :: v_dual_fmac_f32 v11, -0.5, v92
	v_dual_fmac_f32 v37, 0.5, v91 :: v_dual_sub_f32 v92, v155, v106
	s_delay_alu instid0(VALU_DEP_3)
	v_add3_u32 v2, 0, v2, v88
	v_add_f32_e32 v88, v89, v10
	global_wb scope:SCOPE_SE
	v_add_f32_e32 v90, v95, v37
	s_barrier_signal -1
	s_barrier_wait -1
	global_inv scope:SCOPE_SE
	v_fmamk_f32 v31, v92, 0xbf5db3d7, v11
	ds_store_2addr_b32 v2, v88, v90 offset1:10
	v_add_f32_e32 v88, v34, v12
	v_dual_add_f32 v90, v107, v38 :: v_dual_fmac_f32 v11, 0x3f5db3d7, v92
	v_dual_sub_f32 v10, v89, v10 :: v_dual_sub_f32 v37, v95, v37
	v_add_f32_e32 v89, v4, v32
	v_add_f32_e32 v95, v5, v34
	v_dual_fmac_f32 v5, -0.5, v88 :: v_dual_add_f32 v88, v21, v107
	v_dual_fmac_f32 v21, -0.5, v90 :: v_dual_sub_f32 v34, v34, v12
	v_add_f32_e32 v114, v11, v96
	v_sub_f32_e32 v11, v11, v96
	v_sub_f32_e32 v96, v107, v38
	v_add_f32_e32 v92, v154, v4
	v_dual_fmac_f32 v154, -0.5, v89 :: v_dual_fmamk_f32 v89, v34, 0xbf5db3d7, v21
	v_and_b32_e32 v90, 0xffff, v172
	s_delay_alu instid0(VALU_DEP_4) | instskip(SKIP_1) | instid1(VALU_DEP_4)
	v_fmamk_f32 v115, v96, 0x3f5db3d7, v5
	v_fmac_f32_e32 v5, 0xbf5db3d7, v96
	v_dual_sub_f32 v97, v23, v27 :: v_dual_mul_f32 v96, 0x3f5db3d7, v89
	v_dual_fmac_f32 v21, 0x3f5db3d7, v34 :: v_dual_add_f32 v12, v95, v12
	s_delay_alu instid0(VALU_DEP_3)
	v_mul_f32_e32 v34, -0.5, v5
	v_mul_u32_u24_e32 v90, 0xf0, v90
	v_dual_add_f32 v92, v92, v32 :: v_dual_lshlrev_b32 v95, 2, v171
	v_fmac_f32_e32 v96, 0.5, v115
	v_fmamk_f32 v98, v97, 0x3f5db3d7, v154
	v_fmac_f32_e32 v154, 0xbf5db3d7, v97
	v_fmac_f32_e32 v34, 0x3f5db3d7, v21
	v_add3_u32 v116, 0, v90, v95
	v_add_f32_e32 v90, v92, v12
	v_add_f32_e32 v95, v98, v96
	v_sub_f32_e32 v12, v92, v12
	v_add_f32_e32 v92, v154, v34
	v_sub_f32_e32 v96, v98, v96
	v_sub_f32_e32 v34, v154, v34
	ds_store_2addr_b32 v2, v7, v10 offset0:20 offset1:30
	ds_store_2addr_b32 v2, v37, v36 offset0:40 offset1:50
	ds_store_2addr_b32 v116, v90, v95 offset1:10
	ds_store_2addr_b32 v116, v92, v12 offset0:20 offset1:30
	ds_store_2addr_b32 v116, v96, v34 offset0:40 offset1:50
	v_dual_add_f32 v10, v17, v20 :: v_dual_add_f32 v7, v166, v119
	v_add_f32_e32 v34, v24, v13
	v_dual_add_f32 v36, v161, v24 :: v_dual_add_f32 v37, v160, v17
	s_delay_alu instid0(VALU_DEP_3)
	v_fmac_f32_e32 v160, -0.5, v10
	v_sub_f32_e32 v10, v24, v13
	v_add_f32_e32 v12, v153, v166
	v_fmac_f32_e32 v161, -0.5, v34
	v_sub_f32_e32 v17, v17, v20
	v_fmac_f32_e32 v153, -0.5, v7
	v_add_f32_e32 v7, v36, v13
	v_dual_fmamk_f32 v13, v10, 0xbf5db3d7, v160 :: v_dual_sub_f32 v90, v165, v19
	s_delay_alu instid0(VALU_DEP_4) | instskip(NEXT) | instid1(VALU_DEP_2)
	v_dual_fmamk_f32 v34, v17, 0x3f5db3d7, v161 :: v_dual_add_f32 v95, v102, v28
	v_dual_add_f32 v97, v18, v14 :: v_dual_mul_f32 v36, 0x3f5db3d7, v13
	s_delay_alu instid0(VALU_DEP_3) | instskip(NEXT) | instid1(VALU_DEP_3)
	v_fmamk_f32 v92, v90, 0x3f5db3d7, v153
	v_dual_add_f32 v98, v1, v18 :: v_dual_fmac_f32 v159, -0.5, v95
	v_sub_f32_e32 v18, v18, v14
	s_delay_alu instid0(VALU_DEP_4) | instskip(SKIP_3) | instid1(VALU_DEP_4)
	v_fmac_f32_e32 v36, 0.5, v34
	v_fmac_f32_e32 v153, 0xbf5db3d7, v90
	v_fmac_f32_e32 v1, -0.5, v97
	v_sub_f32_e32 v95, v102, v28
	v_dual_fmac_f32 v161, 0xbf5db3d7, v17 :: v_dual_add_f32 v90, v92, v36
	v_sub_f32_e32 v36, v92, v36
	v_add_f32_e32 v92, v163, v16
	v_fmamk_f32 v118, v18, 0xbf5db3d7, v159
	v_add_f32_e32 v96, v152, v163
	v_fmac_f32_e32 v160, 0x3f5db3d7, v10
	v_mul_f32_e32 v10, -0.5, v161
	v_fmac_f32_e32 v152, -0.5, v92
	v_mul_u32_u24_e32 v92, 0xf0, v158
	v_fmamk_f32 v158, v95, 0x3f5db3d7, v1
	v_dual_fmac_f32 v1, 0xbf5db3d7, v95 :: v_dual_add_f32 v14, v98, v14
	v_dual_mul_f32 v97, 0x3f5db3d7, v118 :: v_dual_sub_f32 v98, v3, v15
	s_delay_alu instid0(VALU_DEP_2)
	v_dual_fmac_f32 v159, 0x3f5db3d7, v18 :: v_dual_mul_f32 v18, -0.5, v1
	v_mul_u32_u24_e32 v24, 0xf0, v157
	v_dual_add_f32 v12, v12, v119 :: v_dual_lshlrev_b32 v17, 2, v164
	v_dual_fmac_f32 v10, 0x3f5db3d7, v160 :: v_dual_lshlrev_b32 v95, 2, v162
	v_dual_add_f32 v96, v96, v16 :: v_dual_fmac_f32 v97, 0.5, v158
	v_fmamk_f32 v99, v98, 0x3f5db3d7, v152
	v_fmac_f32_e32 v152, 0xbf5db3d7, v98
	v_fmac_f32_e32 v18, 0x3f5db3d7, v159
	v_add3_u32 v17, 0, v24, v17
	v_add_f32_e32 v24, v12, v7
	v_dual_sub_f32 v7, v12, v7 :: v_dual_add_f32 v12, v153, v10
	v_sub_f32_e32 v10, v153, v10
	v_add3_u32 v162, 0, v92, v95
	v_dual_add_f32 v92, v96, v14 :: v_dual_add_f32 v95, v99, v97
	v_sub_f32_e32 v14, v96, v14
	v_add_f32_e32 v96, v152, v18
	ds_store_2addr_b32 v17, v24, v90 offset1:10
	ds_store_2addr_b32 v17, v12, v7 offset0:20 offset1:30
	ds_store_2addr_b32 v17, v36, v10 offset0:40 offset1:50
	ds_store_2addr_b32 v162, v92, v95 offset1:10
	ds_store_2addr_b32 v162, v96, v14 offset0:20 offset1:30
	v_add_f32_e32 v14, v9, v22
	v_add_f32_e32 v12, v25, v8
	v_add_f32_e32 v24, v101, v6
	v_add_f32_e32 v164, v29, v9
	v_sub_f32_e32 v10, v152, v18
	v_fmac_f32_e32 v29, -0.5, v14
	v_sub_f32_e32 v14, v101, v6
	v_add_f32_e32 v18, v121, v25
	v_add_f32_e32 v36, v30, v101
	v_dual_fmac_f32 v30, -0.5, v24 :: v_dual_sub_f32 v9, v9, v22
	v_fmac_f32_e32 v121, -0.5, v12
	v_fmamk_f32 v12, v14, 0xbf5db3d7, v29
	s_delay_alu instid0(VALU_DEP_4)
	v_add_f32_e32 v6, v36, v6
	v_sub_f32_e32 v92, v26, v176
	v_fmamk_f32 v36, v9, 0x3f5db3d7, v30
	v_fmac_f32_e32 v30, 0xbf5db3d7, v9
	v_mul_f32_e32 v90, 0x3f5db3d7, v12
	v_mul_u32_u24_e32 v24, 0xf0, v169
	v_lshlrev_b32_e32 v9, 2, v168
	v_dual_add_f32 v18, v18, v8 :: v_dual_fmamk_f32 v95, v92, 0x3f5db3d7, v121
	s_delay_alu instid0(VALU_DEP_4)
	v_dual_fmac_f32 v90, 0.5, v36 :: v_dual_sub_f32 v7, v99, v97
	v_fmac_f32_e32 v29, 0x3f5db3d7, v14
	v_dual_mul_f32 v14, -0.5, v30 :: v_dual_fmac_f32 v121, 0xbf5db3d7, v92
	v_add3_u32 v9, 0, v24, v9
	v_add_f32_e32 v24, v18, v6
	v_add_f32_e32 v92, v95, v90
	s_delay_alu instid0(VALU_DEP_4)
	v_fmac_f32_e32 v14, 0x3f5db3d7, v29
	ds_store_2addr_b32 v162, v7, v10 offset0:40 offset1:50
	ds_store_2addr_b32 v9, v24, v92 offset1:10
	v_dual_mul_f32 v7, 0xbf5db3d7, v91 :: v_dual_sub_f32 v6, v18, v6
	v_add_f32_e32 v18, v121, v14
	v_sub_f32_e32 v90, v95, v90
	s_delay_alu instid0(VALU_DEP_3)
	v_dual_sub_f32 v14, v121, v14 :: v_dual_fmac_f32 v7, 0.5, v93
	ds_store_2addr_b32 v9, v18, v6 offset0:20 offset1:30
	ds_store_2addr_b32 v9, v90, v14 offset0:40 offset1:50
	v_add_f32_e32 v6, v94, v35
	v_add_f32_e32 v24, v31, v7
	;; [unrolled: 1-line block ×3, first 2 shown]
	v_sub_f32_e32 v4, v4, v32
	global_wb scope:SCOPE_SE
	s_wait_dscnt 0x0
	s_barrier_signal -1
	s_barrier_wait -1
	v_add_f32_e32 v18, v6, v10
	v_sub_f32_e32 v6, v6, v10
	v_mul_f32_e32 v10, -0.5, v21
	v_add_f32_e32 v14, v23, v27
	v_add_f32_e32 v23, v175, v23
	global_inv scope:SCOPE_SE
	ds_load_b32 v157, v47
	ds_load_b32 v156, v49
	;; [unrolled: 1-line block ×6, first 2 shown]
	ds_load_2addr_stride64_b32 v[90:91], v45 offset1:9
	ds_load_2addr_b32 v[98:99], v145 offset0:64 offset1:160
	ds_load_2addr_b32 v[108:109], v51 offset0:128 offset1:224
	ds_load_2addr_b32 v[100:101], v140 offset1:96
	ds_load_2addr_stride64_b32 v[96:97], v144 offset0:13 offset1:16
	ds_load_2addr_b32 v[106:107], v139 offset1:96
	ds_load_2addr_b32 v[94:95], v69 offset0:64 offset1:160
	ds_load_2addr_b32 v[112:113], v148 offset0:32 offset1:128
	;; [unrolled: 1-line block ×6, first 2 shown]
	global_wb scope:SCOPE_SE
	s_wait_dscnt 0x0
	v_dual_fmac_f32 v175, -0.5, v14 :: v_dual_mul_f32 v14, 0xbf5db3d7, v115
	s_barrier_signal -1
	s_barrier_wait -1
	global_inv scope:SCOPE_SE
	ds_store_2addr_b32 v2, v18, v24 offset1:10
	v_dual_add_f32 v18, v23, v27 :: v_dual_add_f32 v23, v88, v38
	v_fmac_f32_e32 v14, 0.5, v89
	v_dual_fmamk_f32 v24, v4, 0xbf5db3d7, v175 :: v_dual_sub_f32 v7, v31, v7
	v_fmac_f32_e32 v175, 0x3f5db3d7, v4
	v_fmac_f32_e32 v10, 0xbf5db3d7, v5
	v_add_f32_e32 v4, v165, v19
	v_add_f32_e32 v21, v18, v23
	;; [unrolled: 1-line block ×3, first 2 shown]
	ds_store_2addr_b32 v2, v114, v6 offset0:20 offset1:30
	ds_store_2addr_b32 v2, v7, v11 offset0:40 offset1:50
	ds_store_2addr_b32 v116, v21, v27 offset1:10
	v_dual_sub_f32 v2, v18, v23 :: v_dual_add_f32 v5, v175, v10
	v_dual_sub_f32 v7, v175, v10 :: v_dual_add_f32 v10, v170, v165
	v_fmac_f32_e32 v170, -0.5, v4
	v_sub_f32_e32 v4, v166, v119
	v_sub_f32_e32 v6, v24, v14
	ds_store_2addr_b32 v116, v5, v2 offset0:20 offset1:30
	ds_store_2addr_b32 v116, v6, v7 offset0:40 offset1:50
	v_fmamk_f32 v6, v4, 0xbf5db3d7, v170
	v_fmac_f32_e32 v170, 0x3f5db3d7, v4
	v_add_f32_e32 v4, v3, v15
	v_add_f32_e32 v3, v167, v3
	v_dual_add_f32 v2, v10, v19 :: v_dual_mul_f32 v19, -0.5, v29
	v_mul_f32_e32 v5, 0xbf5db3d7, v34
	s_delay_alu instid0(VALU_DEP_4) | instskip(SKIP_3) | instid1(VALU_DEP_3)
	v_fmac_f32_e32 v167, -0.5, v4
	v_sub_f32_e32 v4, v163, v16
	v_add_f32_e32 v3, v3, v15
	v_dual_mul_f32 v15, -0.5, v159 :: v_dual_add_f32 v16, v117, v28
	v_dual_mul_f32 v7, -0.5, v160 :: v_dual_fmamk_f32 v14, v4, 0xbf5db3d7, v167
	v_fmac_f32_e32 v167, 0x3f5db3d7, v4
	s_delay_alu instid0(VALU_DEP_3) | instskip(NEXT) | instid1(VALU_DEP_4)
	v_dual_add_f32 v4, v26, v176 :: v_dual_fmac_f32 v15, 0xbf5db3d7, v1
	v_add_f32_e32 v1, v3, v16
	v_dual_sub_f32 v3, v3, v16 :: v_dual_add_f32 v16, v0, v26
	s_delay_alu instid0(VALU_DEP_3) | instskip(SKIP_3) | instid1(VALU_DEP_3)
	v_fmac_f32_e32 v0, -0.5, v4
	v_sub_f32_e32 v4, v25, v8
	v_dual_add_f32 v10, v37, v20 :: v_dual_fmac_f32 v19, 0xbf5db3d7, v30
	v_fmac_f32_e32 v5, 0.5, v13
	v_dual_mul_f32 v13, 0xbf5db3d7, v158 :: v_dual_fmamk_f32 v20, v4, 0xbf5db3d7, v0
	v_fmac_f32_e32 v0, 0x3f5db3d7, v4
	v_subrev_nc_u32_e32 v4, 60, v52
	v_fmac_f32_e32 v7, 0xbf5db3d7, v161
	s_delay_alu instid0(VALU_DEP_4)
	v_fmac_f32_e32 v13, 0.5, v118
	v_add_f32_e32 v11, v2, v10
	v_sub_f32_e32 v2, v2, v10
	s_wait_alu 0xf1ff
	v_cndmask_b32_e64 v160, v4, v52, s0
	v_add_f32_e32 v4, v0, v19
	v_sub_f32_e32 v19, v0, v19
	v_mul_u32_u24_e32 v0, 0x8889, v86
	v_add_f32_e32 v10, v6, v5
	v_sub_f32_e32 v5, v6, v5
	v_add_f32_e32 v6, v170, v7
	v_sub_f32_e32 v7, v170, v7
	v_lshrrev_b32_e32 v158, 21, v0
	v_add_f32_e32 v8, v14, v13
	v_dual_sub_f32 v13, v14, v13 :: v_dual_add_f32 v14, v167, v15
	v_mul_f32_e32 v18, 0xbf5db3d7, v36
	ds_store_2addr_b32 v17, v11, v10 offset1:10
	ds_store_2addr_b32 v17, v6, v2 offset0:20 offset1:30
	v_mul_u32_u24_e32 v2, 0x8889, v120
	v_mul_i32_i24_e32 v88, 5, v160
	v_mov_b32_e32 v89, 0
	ds_store_2addr_b32 v17, v5, v7 offset0:40 offset1:50
	ds_store_2addr_b32 v162, v1, v8 offset1:10
	ds_store_2addr_b32 v162, v14, v3 offset0:20 offset1:30
	v_mul_lo_u16 v3, v158, 60
	v_add_f32_e32 v16, v16, v176
	v_dual_add_f32 v21, v164, v22 :: v_dual_fmac_f32 v18, 0.5, v12
	v_lshrrev_b32_e32 v159, 21, v2
	v_lshlrev_b64_e32 v[0:1], 3, v[88:89]
	v_sub_f32_e32 v15, v167, v15
	v_sub_nc_u16 v2, v56, v3
	v_add_f32_e32 v12, v16, v21
	v_sub_f32_e32 v16, v16, v21
	v_add_f32_e32 v21, v20, v18
	v_mul_lo_u16 v3, v159, 60
	v_sub_f32_e32 v18, v20, v18
	ds_store_2addr_b32 v162, v13, v15 offset0:40 offset1:50
	v_add_co_u32 v20, s0, s4, v0
	v_and_b32_e32 v162, 0xffff, v2
	ds_store_2addr_b32 v9, v12, v21 offset1:10
	s_wait_alu 0xf1ff
	v_add_co_ci_u32_e64 v21, s0, s5, v1, s0
	v_sub_nc_u16 v0, v79, v3
	v_mul_lo_u16 v1, 0x89, v151
	v_mul_u32_u24_e32 v2, 5, v162
	ds_store_2addr_b32 v9, v4, v16 offset0:20 offset1:30
	ds_store_2addr_b32 v9, v18, v19 offset0:40 offset1:50
	global_wb scope:SCOPE_SE
	s_wait_dscnt 0x0
	v_and_b32_e32 v151, 0xffff, v0
	v_lshrrev_b16 v164, 13, v1
	s_barrier_signal -1
	s_barrier_wait -1
	global_inv scope:SCOPE_SE
	global_load_b128 v[12:15], v[20:21], off offset:400
	v_lshlrev_b32_e32 v86, 3, v2
	v_mul_u32_u24_e32 v0, 5, v151
	v_mul_lo_u16 v1, v164, 60
	v_cmp_lt_u32_e64 s0, 59, v52
	s_clause 0x1
	global_load_b128 v[8:11], v86, s[4:5] offset:400
	global_load_b128 v[28:31], v86, s[4:5] offset:416
	v_lshlrev_b32_e32 v88, 3, v0
	v_sub_nc_u16 v0, v58, v1
	s_clause 0x1
	global_load_b128 v[4:7], v88, s[4:5] offset:400
	global_load_b128 v[24:27], v88, s[4:5] offset:416
	v_and_b32_e32 v163, 0xff, v0
	global_load_b128 v[0:3], v[20:21], off offset:416
	v_mul_u32_u24_e32 v16, 5, v163
	s_delay_alu instid0(VALU_DEP_1) | instskip(SKIP_3) | instid1(VALU_DEP_1)
	v_lshlrev_b32_e32 v114, 3, v16
	v_mul_u32_u24_e32 v16, 0x8889, v150
	global_load_b128 v[36:39], v114, s[4:5] offset:416
	v_lshrrev_b32_e32 v161, 21, v16
	v_mul_lo_u16 v16, v161, 60
	s_delay_alu instid0(VALU_DEP_1) | instskip(NEXT) | instid1(VALU_DEP_1)
	v_sub_nc_u16 v16, v87, v16
	v_and_b32_e32 v150, 0xffff, v16
	s_delay_alu instid0(VALU_DEP_1) | instskip(NEXT) | instid1(VALU_DEP_1)
	v_mul_u32_u24_e32 v16, 5, v150
	v_lshlrev_b32_e32 v115, 3, v16
	s_clause 0x7
	global_load_b128 v[16:19], v115, s[4:5] offset:416
	global_load_b64 v[116:117], v[20:21], off offset:432
	global_load_b128 v[32:35], v115, s[4:5] offset:400
	global_load_b128 v[20:23], v114, s[4:5] offset:400
	global_load_b64 v[118:119], v114, s[4:5] offset:432
	global_load_b64 v[120:121], v86, s[4:5] offset:432
	global_load_b64 v[86:87], v88, s[4:5] offset:432
	global_load_b64 v[114:115], v115, s[4:5] offset:432
	ds_load_b32 v172, v47
	ds_load_b32 v173, v49
	ds_load_2addr_b32 v[166:167], v148 offset0:32 offset1:128
	ds_load_2addr_b32 v[168:169], v149 offset0:128 offset1:224
	ds_load_b32 v148, v141
	ds_load_b32 v88, v142
	;; [unrolled: 1-line block ×4, first 2 shown]
	ds_load_2addr_b32 v[170:171], v145 offset0:64 offset1:160
	s_wait_loadcnt_dscnt 0xe08
	v_mul_f32_e32 v174, v172, v13
	v_mul_f32_e32 v175, v157, v13
	s_wait_dscnt 0x7
	v_mul_f32_e32 v13, v173, v15
	v_mul_f32_e32 v15, v156, v15
	v_fma_f32 v174, v157, v12, -v174
	v_fmac_f32_e32 v175, v172, v12
	s_delay_alu instid0(VALU_DEP_4)
	v_fma_f32 v172, v156, v14, -v13
	s_wait_loadcnt_dscnt 0xd06
	v_mul_f32_e32 v157, v166, v9
	ds_load_2addr_b32 v[12:13], v51 offset0:128 offset1:224
	v_dual_mul_f32 v145, v112, v9 :: v_dual_mul_f32 v156, v110, v11
	v_fma_f32 v112, v112, v8, -v157
	s_wait_dscnt 0x6
	v_mul_f32_e32 v9, v168, v11
	s_wait_loadcnt 0xb
	v_mul_f32_e32 v11, v167, v5
	v_dual_fmac_f32 v145, v166, v8 :: v_dual_fmac_f32 v156, v168, v10
	s_delay_alu instid0(VALU_DEP_3)
	v_fma_f32 v157, v110, v10, -v9
	ds_load_2addr_b32 v[8:9], v139 offset1:96
	v_fmac_f32_e32 v15, v173, v14
	v_mul_f32_e32 v110, v113, v5
	v_fma_f32 v5, v113, v4, -v11
	v_mul_f32_e32 v14, v169, v7
	v_mul_f32_e32 v113, v111, v7
	s_wait_loadcnt_dscnt 0x902
	v_mul_f32_e32 v7, v171, v1
	ds_load_2addr_b32 v[10:11], v146 offset0:64 offset1:160
	v_fmac_f32_e32 v110, v167, v4
	v_fma_f32 v4, v111, v6, -v14
	v_fmac_f32_e32 v113, v169, v6
	v_fma_f32 v14, v99, v0, -v7
	v_mul_f32_e32 v99, v99, v1
	s_wait_dscnt 0x2
	v_mul_f32_e32 v1, v12, v3
	v_mul_f32_e32 v3, v108, v3
	ds_load_2addr_b32 v[6:7], v147 offset0:64 offset1:160
	s_wait_loadcnt 0x8
	v_mul_f32_e32 v111, v13, v39
	v_mul_f32_e32 v146, v109, v39
	v_fma_f32 v39, v108, v2, -v1
	v_fmac_f32_e32 v3, v12, v2
	ds_load_2addr_b32 v[1:2], v140 offset1:96
	s_wait_dscnt 0x3
	v_dual_fmac_f32 v99, v171, v0 :: v_dual_mul_f32 v0, v8, v37
	v_fma_f32 v108, v109, v38, -v111
	v_fmac_f32_e32 v146, v13, v38
	v_mul_f32_e32 v13, v9, v29
	v_mul_f32_e32 v12, v106, v37
	v_fma_f32 v38, v106, v36, -v0
	s_wait_dscnt 0x2
	v_mul_f32_e32 v0, v11, v27
	v_mul_f32_e32 v29, v107, v29
	v_fma_f32 v13, v107, v28, -v13
	v_mul_f32_e32 v107, v104, v31
	v_mul_f32_e32 v109, v105, v27
	v_fma_f32 v111, v105, v26, -v0
	v_mul_f32_e32 v37, v10, v31
	s_wait_dscnt 0x1
	v_mul_f32_e32 v27, v6, v25
	v_dual_mul_f32 v25, v102, v25 :: v_dual_fmac_f32 v12, v8, v36
	v_fmac_f32_e32 v29, v9, v28
	ds_load_2addr_stride64_b32 v[8:9], v144 offset0:13 offset1:16
	v_fmac_f32_e32 v107, v10, v30
	v_fmac_f32_e32 v109, v11, v26
	v_fma_f32 v26, v102, v24, -v27
	s_wait_loadcnt 0x7
	v_dual_fmac_f32 v25, v6, v24 :: v_dual_mul_f32 v6, v7, v17
	s_wait_dscnt 0x1
	v_dual_mul_f32 v17, v103, v17 :: v_dual_mul_f32 v10, v1, v19
	v_fma_f32 v106, v104, v30, -v37
	v_mul_f32_e32 v0, v100, v19
	ds_load_2addr_stride64_b32 v[104:105], v45 offset1:9
	v_fma_f32 v19, v103, v16, -v6
	v_fmac_f32_e32 v17, v7, v16
	v_fma_f32 v100, v100, v18, -v10
	ds_load_2addr_b32 v[6:7], v69 offset0:64 offset1:160
	ds_load_2addr_b32 v[10:11], v143 offset0:128 offset1:224
	s_wait_loadcnt 0x6
	v_dual_fmac_f32 v0, v1, v18 :: v_dual_mul_f32 v1, v2, v117
	v_mul_f32_e32 v16, v101, v117
	s_wait_loadcnt 0x5
	v_mul_f32_e32 v18, v170, v35
	v_mul_f32_e32 v102, v98, v35
	s_wait_dscnt 0x3
	v_mul_f32_e32 v24, v8, v33
	v_fma_f32 v27, v101, v116, -v1
	v_fmac_f32_e32 v16, v2, v116
	v_fma_f32 v2, v98, v34, -v18
	s_wait_loadcnt 0x4
	v_mul_f32_e32 v18, v9, v23
	v_dual_mul_f32 v98, v97, v23 :: v_dual_mul_f32 v101, v91, v21
	v_fma_f32 v1, v96, v32, -v24
	v_mul_f32_e32 v96, v96, v33
	s_wait_dscnt 0x2
	v_mul_f32_e32 v23, v105, v21
	v_fma_f32 v97, v97, v22, -v18
	v_fmac_f32_e32 v98, v9, v22
	v_fmac_f32_e32 v101, v105, v20
	s_wait_loadcnt 0x3
	v_mul_f32_e32 v105, v94, v119
	s_wait_loadcnt_dscnt 0x201
	v_mul_f32_e32 v9, v7, v121
	v_mul_f32_e32 v116, v95, v121
	s_wait_loadcnt_dscnt 0x100
	v_dual_mul_f32 v18, v10, v87 :: v_dual_add_f32 v21, v99, v16
	v_fmac_f32_e32 v96, v8, v32
	v_fma_f32 v103, v91, v20, -v23
	v_mul_f32_e32 v8, v6, v119
	v_fmac_f32_e32 v105, v6, v118
	v_fma_f32 v6, v95, v120, -v9
	v_fmac_f32_e32 v116, v7, v120
	v_fma_f32 v7, v92, v86, -v18
	v_add_f32_e32 v9, v14, v27
	v_add_f32_e32 v18, v172, v39
	v_dual_add_f32 v20, v174, v14 :: v_dual_add_f32 v23, v175, v99
	v_dual_fmac_f32 v175, -0.5, v21 :: v_dual_sub_f32 v14, v14, v27
	v_fma_f32 v8, v94, v118, -v8
	v_mul_f32_e32 v94, v92, v87
	v_dual_fmac_f32 v174, -0.5, v9 :: v_dual_sub_f32 v9, v99, v16
	v_add_f32_e32 v22, v90, v172
	v_fmac_f32_e32 v90, -0.5, v18
	v_fmamk_f32 v18, v14, 0xbf5db3d7, v175
	s_wait_loadcnt 0x0
	v_dual_mul_f32 v24, v11, v115 :: v_dual_fmamk_f32 v21, v9, 0x3f5db3d7, v174
	v_dual_fmac_f32 v174, 0xbf5db3d7, v9 :: v_dual_sub_f32 v9, v15, v3
	v_dual_mul_f32 v95, v93, v115 :: v_dual_fmac_f32 v94, v10, v86
	v_mul_f32_e32 v10, 0x3f5db3d7, v18
	v_add_f32_e32 v20, v20, v27
	s_delay_alu instid0(VALU_DEP_4)
	v_fmamk_f32 v28, v9, 0x3f5db3d7, v90
	v_fmac_f32_e32 v90, 0xbf5db3d7, v9
	v_fma_f32 v9, v93, v114, -v24
	v_fmac_f32_e32 v95, v11, v114
	v_lshlrev_b32_e32 v11, 2, v160
	s_wait_alu 0xf1ff
	v_cndmask_b32_e64 v24, 0, 0x5a0, s0
	v_add_f32_e32 v22, v22, v39
	v_fmac_f32_e32 v10, 0.5, v21
	global_wb scope:SCOPE_SE
	s_barrier_signal -1
	v_add3_u32 v93, 0, v24, v11
	v_dual_add_f32 v11, v22, v20 :: v_dual_add_f32 v24, v28, v10
	s_barrier_wait -1
	global_inv scope:SCOPE_SE
	v_sub_f32_e32 v10, v28, v10
	v_add_f32_e32 v28, v38, v8
	ds_store_2addr_b32 v93, v11, v24 offset1:60
	v_dual_sub_f32 v11, v22, v20 :: v_dual_add_f32 v20, v12, v105
	v_add_f32_e32 v114, v101, v12
	v_add_f32_e32 v22, v97, v108
	v_dual_add_f32 v30, v103, v38 :: v_dual_fmac_f32 v103, -0.5, v28
	s_delay_alu instid0(VALU_DEP_4) | instskip(SKIP_3) | instid1(VALU_DEP_3)
	v_fmac_f32_e32 v101, -0.5, v20
	v_sub_f32_e32 v20, v38, v8
	v_and_b32_e32 v28, 0xffff, v164
	v_dual_sub_f32 v12, v12, v105 :: v_dual_fmac_f32 v175, 0x3f5db3d7, v14
	v_dual_mul_f32 v14, -0.5, v174 :: v_dual_fmamk_f32 v115, v20, 0xbf5db3d7, v101
	v_dual_add_f32 v24, v155, v97 :: v_dual_fmac_f32 v155, -0.5, v22
	v_add_f32_e32 v8, v30, v8
	v_mul_u32_u24_e32 v22, 0x5a0, v28
	s_delay_alu instid0(VALU_DEP_4)
	v_dual_fmamk_f32 v117, v12, 0x3f5db3d7, v103 :: v_dual_mul_f32 v28, 0x3f5db3d7, v115
	v_sub_f32_e32 v30, v98, v146
	v_fmac_f32_e32 v14, 0x3f5db3d7, v175
	v_lshlrev_b32_e32 v31, 2, v163
	v_fmac_f32_e32 v103, 0xbf5db3d7, v12
	v_add_f32_e32 v12, v24, v108
	v_fmac_f32_e32 v28, 0.5, v117
	v_fmamk_f32 v24, v30, 0x3f5db3d7, v155
	v_add_f32_e32 v27, v90, v14
	v_fmac_f32_e32 v102, v170, v34
	v_dual_sub_f32 v14, v90, v14 :: v_dual_add_nc_u32 v99, 0x200, v93
	v_add3_u32 v118, 0, v22, v31
	v_add_f32_e32 v22, v12, v8
	v_add_f32_e32 v31, v24, v28
	v_dual_fmac_f32 v101, 0x3f5db3d7, v20 :: v_dual_mul_f32 v20, -0.5, v103
	ds_store_2addr_b32 v93, v27, v11 offset0:120 offset1:180
	ds_store_2addr_b32 v99, v10, v14 offset0:112 offset1:172
	ds_store_2addr_b32 v118, v22, v31 offset1:60
	v_dual_add_f32 v14, v29, v116 :: v_dual_fmac_f32 v155, 0xbf5db3d7, v30
	v_sub_f32_e32 v164, v172, v39
	v_fmac_f32_e32 v20, 0x3f5db3d7, v101
	v_add_f32_e32 v22, v13, v6
	s_delay_alu instid0(VALU_DEP_4)
	v_dual_add_f32 v120, v145, v29 :: v_dual_fmac_f32 v145, -0.5, v14
	v_sub_f32_e32 v14, v13, v6
	v_sub_f32_e32 v8, v12, v8
	v_add_f32_e32 v10, v155, v20
	v_sub_f32_e32 v12, v155, v20
	v_dual_add_f32 v20, v157, v106 :: v_dual_add_f32 v13, v112, v13
	v_fmac_f32_e32 v112, -0.5, v22
	v_dual_sub_f32 v22, v29, v116 :: v_dual_fmamk_f32 v121, v14, 0xbf5db3d7, v145
	v_dual_sub_f32 v11, v24, v28 :: v_dual_add_nc_u32 v34, 0x2200, v45
	v_add_f32_e32 v24, v154, v157
	v_fmac_f32_e32 v154, -0.5, v20
	s_delay_alu instid0(VALU_DEP_4)
	v_fmamk_f32 v144, v22, 0x3f5db3d7, v112
	v_dual_mul_f32 v20, 0x3f5db3d7, v121 :: v_dual_sub_f32 v27, v156, v107
	v_add_f32_e32 v6, v13, v6
	v_mul_u32_u24_e32 v13, 0x5a0, v158
	v_lshlrev_b32_e32 v28, 2, v162
	v_fmac_f32_e32 v112, 0xbf5db3d7, v22
	v_add_f32_e32 v22, v24, v106
	v_fmac_f32_e32 v20, 0.5, v144
	v_fmamk_f32 v24, v27, 0x3f5db3d7, v154
	v_add_nc_u32_e32 v119, 0x200, v118
	v_add3_u32 v147, 0, v13, v28
	v_sub_f32_e32 v97, v97, v108
	s_delay_alu instid0(VALU_DEP_4)
	v_dual_add_f32 v13, v22, v6 :: v_dual_add_f32 v28, v24, v20
	ds_store_2addr_b32 v118, v10, v8 offset0:120 offset1:180
	ds_store_2addr_b32 v119, v11, v12 offset0:112 offset1:172
	ds_store_2addr_b32 v147, v13, v28 offset1:60
	v_sub_f32_e32 v6, v22, v6
	v_add_f32_e32 v22, v5, v26
	v_add_f32_e32 v13, v25, v94
	v_dual_fmac_f32 v145, 0x3f5db3d7, v14 :: v_dual_mul_f32 v14, -0.5, v112
	v_sub_f32_e32 v10, v24, v20
	v_add_f32_e32 v20, v26, v7
	v_add_f32_e32 v155, v110, v25
	v_dual_fmac_f32 v110, -0.5, v13 :: v_dual_sub_f32 v13, v26, v7
	v_fmac_f32_e32 v154, 0xbf5db3d7, v27
	v_fmac_f32_e32 v14, 0x3f5db3d7, v145
	v_dual_add_f32 v12, v4, v111 :: v_dual_fmac_f32 v5, -0.5, v20
	v_sub_f32_e32 v20, v25, v94
	v_fmamk_f32 v158, v13, 0xbf5db3d7, v110
	s_delay_alu instid0(VALU_DEP_4)
	v_add_f32_e32 v8, v154, v14
	v_dual_sub_f32 v11, v154, v14 :: v_dual_add_f32 v14, v153, v4
	v_fmac_f32_e32 v153, -0.5, v12
	v_mul_u32_u24_e32 v12, 0x5a0, v159
	v_fmamk_f32 v159, v20, 0x3f5db3d7, v5
	v_dual_fmac_f32 v5, 0xbf5db3d7, v20 :: v_dual_sub_f32 v4, v4, v111
	v_dual_add_f32 v7, v22, v7 :: v_dual_mul_f32 v22, 0x3f5db3d7, v158
	v_sub_f32_e32 v24, v113, v109
	v_fmac_f32_e32 v110, 0x3f5db3d7, v13
	s_delay_alu instid0(VALU_DEP_4) | instskip(SKIP_1) | instid1(VALU_DEP_4)
	v_dual_mul_f32 v13, -0.5, v5 :: v_dual_lshlrev_b32 v20, 2, v151
	v_add_f32_e32 v14, v14, v111
	v_dual_fmac_f32 v22, 0.5, v159 :: v_dual_fmamk_f32 v25, v24, 0x3f5db3d7, v153
	v_fmac_f32_e32 v153, 0xbf5db3d7, v24
	s_delay_alu instid0(VALU_DEP_4)
	v_fmac_f32_e32 v13, 0x3f5db3d7, v110
	v_add3_u32 v151, 0, v12, v20
	v_add_nc_u32_e32 v154, 0x200, v147
	v_add_f32_e32 v12, v14, v7
	v_dual_add_f32 v20, v25, v22 :: v_dual_sub_f32 v7, v14, v7
	v_add_f32_e32 v14, v153, v13
	v_sub_f32_e32 v22, v25, v22
	v_sub_f32_e32 v13, v153, v13
	v_add_nc_u32_e32 v153, 0x200, v151
	ds_store_2addr_b32 v147, v8, v6 offset0:120 offset1:180
	ds_store_2addr_b32 v154, v10, v11 offset0:112 offset1:172
	ds_store_2addr_b32 v151, v12, v20 offset1:60
	ds_store_2addr_b32 v151, v14, v7 offset0:120 offset1:180
	ds_store_2addr_b32 v153, v22, v13 offset0:112 offset1:172
	v_dual_add_f32 v7, v17, v95 :: v_dual_add_f32 v10, v19, v9
	v_add_f32_e32 v160, v96, v17
	v_dual_add_f32 v6, v2, v100 :: v_dual_add_f32 v11, v1, v19
	s_delay_alu instid0(VALU_DEP_3) | instskip(NEXT) | instid1(VALU_DEP_4)
	v_dual_fmac_f32 v96, -0.5, v7 :: v_dual_sub_f32 v7, v19, v9
	v_dual_fmac_f32 v1, -0.5, v10 :: v_dual_sub_f32 v10, v17, v95
	v_add_f32_e32 v8, v152, v2
	v_sub_f32_e32 v2, v2, v100
	s_delay_alu instid0(VALU_DEP_4)
	v_fmamk_f32 v162, v7, 0xbf5db3d7, v96
	v_fmac_f32_e32 v152, -0.5, v6
	v_add_f32_e32 v6, v11, v9
	v_mul_u32_u24_e32 v9, 0x5a0, v161
	v_fmamk_f32 v161, v10, 0x3f5db3d7, v1
	v_fmac_f32_e32 v1, 0xbf5db3d7, v10
	v_dual_mul_f32 v11, 0x3f5db3d7, v162 :: v_dual_sub_f32 v12, v102, v0
	v_lshlrev_b32_e32 v10, 2, v150
	s_delay_alu instid0(VALU_DEP_3) | instskip(NEXT) | instid1(VALU_DEP_3)
	v_dual_fmac_f32 v96, 0x3f5db3d7, v7 :: v_dual_mul_f32 v7, -0.5, v1
	v_dual_add_f32 v8, v8, v100 :: v_dual_fmac_f32 v11, 0.5, v161
	s_delay_alu instid0(VALU_DEP_4) | instskip(NEXT) | instid1(VALU_DEP_4)
	v_fmamk_f32 v13, v12, 0x3f5db3d7, v152
	v_add3_u32 v150, 0, v9, v10
	s_delay_alu instid0(VALU_DEP_4) | instskip(NEXT) | instid1(VALU_DEP_4)
	v_fmac_f32_e32 v7, 0x3f5db3d7, v96
	v_dual_mul_f32 v96, -0.5, v96 :: v_dual_add_f32 v9, v8, v6
	s_delay_alu instid0(VALU_DEP_4)
	v_add_f32_e32 v10, v13, v11
	v_add_f32_e32 v95, v160, v95
	v_dual_mul_f32 v163, 0xbf5db3d7, v21 :: v_dual_fmac_f32 v152, 0xbf5db3d7, v12
	v_add_f32_e32 v166, v23, v16
	ds_store_2addr_b32 v150, v9, v10 offset1:60
	v_add_f32_e32 v10, v15, v3
	v_add_f32_e32 v9, v104, v15
	v_fmac_f32_e32 v163, 0.5, v18
	v_sub_f32_e32 v6, v8, v6
	v_add_f32_e32 v8, v152, v7
	s_delay_alu instid0(VALU_DEP_4) | instskip(SKIP_3) | instid1(VALU_DEP_4)
	v_dual_fmac_f32 v104, -0.5, v10 :: v_dual_add_f32 v3, v9, v3
	v_lshl_add_u32 v28, v85, 2, 0
	v_lshl_add_u32 v32, v61, 2, 0
	v_sub_f32_e32 v11, v13, v11
	v_dual_fmamk_f32 v167, v164, 0xbf5db3d7, v104 :: v_dual_add_f32 v168, v3, v166
	v_dual_sub_f32 v7, v152, v7 :: v_dual_add_nc_u32 v152, 0x200, v150
	v_lshl_add_u32 v30, v60, 2, 0
	s_delay_alu instid0(VALU_DEP_3)
	v_add_f32_e32 v169, v167, v163
	v_lshl_add_u32 v33, v62, 2, 0
	v_lshl_add_u32 v35, v64, 2, 0
	;; [unrolled: 1-line block ×4, first 2 shown]
	v_mul_f32_e32 v170, -0.5, v175
	ds_store_2addr_b32 v150, v8, v6 offset0:120 offset1:180
	ds_store_2addr_b32 v152, v11, v7 offset0:112 offset1:172
	global_wb scope:SCOPE_SE
	s_wait_dscnt 0x0
	s_barrier_signal -1
	s_barrier_wait -1
	global_inv scope:SCOPE_SE
	ds_load_b32 v91, v45
	v_add_nc_u32_e32 v29, 0x1600, v45
	v_add_nc_u32_e32 v31, 0x1e00, v45
	ds_load_b32 v39, v28
	ds_load_b32 v27, v30
	v_lshl_add_u32 v38, v70, 2, 0
	ds_load_b32 v26, v32
	ds_load_b32 v24, v33
	;; [unrolled: 1-line block ×12, first 2 shown]
	ds_load_b32 v92, v45 offset:11136
	ds_load_2addr_b32 v[18:19], v29 offset0:32 offset1:128
	ds_load_2addr_b32 v[16:17], v139 offset0:96 offset1:192
	ds_load_2addr_b32 v[14:15], v51 offset0:32 offset1:128
	ds_load_2addr_b32 v[12:13], v31 offset0:96 offset1:192
	ds_load_2addr_b32 v[8:9], v34 offset0:32 offset1:128
	ds_load_2addr_b32 v[10:11], v140 offset0:96 offset1:192
	ds_load_2addr_b32 v[6:7], v143 offset0:32 offset1:128
	global_wb scope:SCOPE_SE
	s_wait_dscnt 0x0
	s_barrier_signal -1
	s_barrier_wait -1
	global_inv scope:SCOPE_SE
	ds_store_2addr_b32 v93, v168, v169 offset1:60
	v_add_f32_e32 v168, v98, v146
	v_fmac_f32_e32 v104, 0x3f5db3d7, v164
	v_fmac_f32_e32 v170, 0xbf5db3d7, v174
	v_dual_add_f32 v98, v165, v98 :: v_dual_mul_f32 v117, 0xbf5db3d7, v117
	s_delay_alu instid0(VALU_DEP_4) | instskip(SKIP_1) | instid1(VALU_DEP_4)
	v_fmac_f32_e32 v165, -0.5, v168
	v_sub_f32_e32 v3, v3, v166
	v_dual_add_f32 v108, v104, v170 :: v_dual_mul_f32 v101, -0.5, v101
	s_delay_alu instid0(VALU_DEP_4)
	v_add_f32_e32 v98, v98, v146
	v_add_f32_e32 v105, v114, v105
	v_fmac_f32_e32 v117, 0.5, v115
	v_fmamk_f32 v114, v97, 0xbf5db3d7, v165
	v_dual_sub_f32 v104, v104, v170 :: v_dual_sub_f32 v115, v167, v163
	ds_store_2addr_b32 v93, v108, v3 offset0:120 offset1:180
	v_fmac_f32_e32 v165, 0x3f5db3d7, v97
	v_fmac_f32_e32 v101, 0xbf5db3d7, v103
	v_dual_add_f32 v93, v156, v107 :: v_dual_add_f32 v146, v98, v105
	v_add_f32_e32 v163, v114, v117
	ds_store_2addr_b32 v99, v115, v104 offset0:112 offset1:172
	ds_store_2addr_b32 v118, v146, v163 offset1:60
	v_sub_f32_e32 v3, v98, v105
	v_add_f32_e32 v97, v165, v101
	v_sub_f32_e32 v99, v165, v101
	v_add_f32_e32 v101, v149, v156
	v_fmac_f32_e32 v149, -0.5, v93
	v_dual_sub_f32 v93, v157, v106 :: v_dual_sub_f32 v98, v114, v117
	ds_store_2addr_b32 v118, v97, v3 offset0:120 offset1:180
	ds_store_2addr_b32 v119, v98, v99 offset0:112 offset1:172
	v_add_f32_e32 v3, v101, v107
	v_dual_fmamk_f32 v98, v93, 0xbf5db3d7, v149 :: v_dual_add_f32 v101, v120, v116
	v_fmac_f32_e32 v149, 0x3f5db3d7, v93
	v_dual_add_f32 v93, v113, v109 :: v_dual_mul_f32 v104, 0xbf5db3d7, v159
	s_delay_alu instid0(VALU_DEP_3) | instskip(SKIP_2) | instid1(VALU_DEP_4)
	v_dual_mul_f32 v106, -0.5, v110 :: v_dual_add_f32 v103, v3, v101
	v_sub_f32_e32 v3, v3, v101
	v_add_f32_e32 v101, v148, v113
	v_fmac_f32_e32 v148, -0.5, v93
	v_add_f32_e32 v94, v155, v94
	v_dual_fmac_f32 v104, 0.5, v158 :: v_dual_mul_f32 v97, 0xbf5db3d7, v144
	s_delay_alu instid0(VALU_DEP_4) | instskip(NEXT) | instid1(VALU_DEP_4)
	v_add_f32_e32 v101, v101, v109
	v_fmamk_f32 v105, v4, 0xbf5db3d7, v148
	v_fmac_f32_e32 v148, 0x3f5db3d7, v4
	v_add_f32_e32 v4, v102, v0
	s_delay_alu instid0(VALU_DEP_4) | instskip(SKIP_1) | instid1(VALU_DEP_3)
	v_dual_fmac_f32 v106, 0xbf5db3d7, v5 :: v_dual_add_f32 v5, v101, v94
	v_sub_f32_e32 v94, v101, v94
	v_dual_add_f32 v101, v88, v102 :: v_dual_fmac_f32 v88, -0.5, v4
	v_add_f32_e32 v4, v105, v104
	v_dual_sub_f32 v100, v105, v104 :: v_dual_mul_f32 v105, 0xbf5db3d7, v161
	v_mul_f32_e32 v99, -0.5, v145
	s_delay_alu instid0(VALU_DEP_4) | instskip(SKIP_1) | instid1(VALU_DEP_4)
	v_dual_fmac_f32 v97, 0.5, v121 :: v_dual_add_f32 v0, v101, v0
	v_fmamk_f32 v101, v2, 0xbf5db3d7, v88
	v_fmac_f32_e32 v105, 0.5, v162
	s_delay_alu instid0(VALU_DEP_4)
	v_fmac_f32_e32 v99, 0xbf5db3d7, v112
	v_fmac_f32_e32 v88, 0x3f5db3d7, v2
	;; [unrolled: 1-line block ×3, first 2 shown]
	v_dual_add_f32 v93, v98, v97 :: v_dual_add_f32 v102, v148, v106
	v_sub_f32_e32 v104, v148, v106
	v_add_f32_e32 v2, v0, v95
	v_add_f32_e32 v106, v101, v105
	v_dual_sub_f32 v97, v98, v97 :: v_dual_add_f32 v98, v149, v99
	v_sub_f32_e32 v95, v0, v95
	v_sub_f32_e32 v101, v101, v105
	v_add_f32_e32 v105, v88, v96
	v_dual_sub_f32 v99, v149, v99 :: v_dual_sub_f32 v88, v88, v96
	v_lshlrev_b64_e32 v[0:1], 3, v[52:53]
	ds_store_2addr_b32 v147, v103, v93 offset1:60
	ds_store_2addr_b32 v147, v98, v3 offset0:120 offset1:180
	ds_store_2addr_b32 v154, v97, v99 offset0:112 offset1:172
	ds_store_2addr_b32 v151, v5, v4 offset1:60
	ds_store_2addr_b32 v151, v102, v94 offset0:120 offset1:180
	ds_store_2addr_b32 v153, v100, v104 offset0:112 offset1:172
	;; [unrolled: 3-line block ×3, first 2 shown]
	v_lshlrev_b64_e32 v[2:3], 3, v[83:84]
	v_add_nc_u32_e32 v4, 0xffffffb8, v52
	v_and_b32_e32 v5, 0xffff, v60
	v_add_co_u32 v0, s0, s4, v0
	s_wait_alu 0xf1ff
	v_add_co_ci_u32_e64 v1, s0, s5, v1, s0
	v_add_co_u32 v2, s0, s4, v2
	s_wait_alu 0xf1ff
	v_add_co_ci_u32_e64 v3, s0, s5, v3, s0
	v_cmp_gt_u32_e64 s0, 0x48, v52
	v_and_b32_e32 v83, 0xffff, v61
	v_and_b32_e32 v84, 0xffff, v62
	;; [unrolled: 1-line block ×3, first 2 shown]
	global_wb scope:SCOPE_SE
	s_wait_dscnt 0x0
	s_wait_alu 0xf1ff
	v_cndmask_b32_e64 v88, v4, v79, s0
	v_mul_u32_u24_e32 v79, 0x2d83, v5
	v_mul_u32_u24_e32 v83, 0x2d83, v83
	v_lshlrev_b64_e32 v[4:5], 3, v[81:82]
	v_mul_u32_u24_e32 v84, 0x2d83, v84
	v_lshlrev_b64_e32 v[81:82], 3, v[88:89]
	v_lshrrev_b32_e32 v79, 22, v79
	v_lshrrev_b32_e32 v83, 22, v83
	s_barrier_signal -1
	v_add_co_u32 v4, s0, s4, v4
	s_delay_alu instid0(VALU_DEP_3) | instskip(NEXT) | instid1(VALU_DEP_3)
	v_mul_lo_u16 v93, 0x168, v79
	v_mul_lo_u16 v83, 0x168, v83
	v_lshrrev_b32_e32 v95, 22, v84
	s_wait_alu 0xf1ff
	v_add_co_ci_u32_e64 v5, s0, s5, v5, s0
	v_sub_nc_u16 v96, v60, v93
	s_barrier_wait -1
	global_inv scope:SCOPE_SE
	v_sub_nc_u16 v97, v61, v83
	s_clause 0x1
	global_load_b64 v[83:84], v[2:3], off offset:2800
	global_load_b64 v[93:94], v[4:5], off offset:2800
	v_mul_lo_u16 v98, 0x168, v95
	v_and_b32_e32 v121, 0xffff, v96
	global_load_b64 v[95:96], v[0:1], off offset:2800
	v_mul_u32_u24_e32 v103, 0x2d83, v103
	v_add_co_u32 v81, s0, s4, v81
	s_wait_alu 0xf1ff
	v_add_co_ci_u32_e64 v82, s0, s5, v82, s0
	v_sub_nc_u16 v104, v62, v98
	v_and_b32_e32 v106, 0xffff, v64
	v_lshrrev_b32_e32 v103, 22, v103
	v_and_b32_e32 v150, 0xffff, v97
	s_clause 0x2
	global_load_b64 v[97:98], v[0:1], off offset:2992
	global_load_b64 v[99:100], v[0:1], off offset:3760
	global_load_b64 v[101:102], v[0:1], off offset:4528
	v_and_b32_e32 v151, 0xffff, v104
	global_load_b64 v[81:82], v[81:82], off offset:2800
	v_mul_u32_u24_e32 v104, 0x2d83, v106
	v_mul_lo_u16 v110, 0x168, v103
	v_and_b32_e32 v106, 0xffff, v66
	v_and_b32_e32 v109, 0xffff, v68
	;; [unrolled: 1-line block ×3, first 2 shown]
	v_lshrrev_b32_e32 v152, 22, v104
	v_sub_nc_u16 v110, v63, v110
	v_mul_u32_u24_e32 v111, 0x2d83, v106
	v_mul_u32_u24_e32 v109, 0x2d83, v109
	v_lshlrev_b32_e32 v105, 3, v121
	v_mul_lo_u16 v112, 0x168, v152
	v_and_b32_e32 v153, 0xffff, v110
	v_mul_u32_u24_e32 v110, 0x2d83, v113
	v_lshrrev_b32_e32 v111, 22, v111
	v_lshlrev_b32_e32 v107, 3, v150
	v_lshrrev_b32_e32 v109, 22, v109
	v_lshlrev_b32_e32 v108, 3, v151
	v_sub_nc_u16 v112, v64, v112
	v_lshrrev_b32_e32 v113, 22, v110
	s_clause 0x2
	global_load_b64 v[103:104], v105, s[4:5] offset:2800
	global_load_b64 v[105:106], v107, s[4:5] offset:2800
	;; [unrolled: 1-line block ×3, first 2 shown]
	v_mul_lo_u16 v111, 0x168, v111
	v_mul_lo_u16 v109, 0x168, v109
	v_and_b32_e32 v154, 0xffff, v112
	v_mul_lo_u16 v113, 0x168, v113
	v_lshlrev_b32_e32 v112, 3, v153
	v_sub_nc_u16 v111, v66, v111
	v_sub_nc_u16 v114, v68, v109
	v_lshlrev_b32_e32 v115, 3, v154
	v_sub_nc_u16 v117, v70, v113
	global_load_b64 v[109:110], v112, s[4:5] offset:2800
	v_and_b32_e32 v155, 0xffff, v111
	v_and_b32_e32 v156, 0xffff, v114
	global_load_b64 v[111:112], v115, s[4:5] offset:2800
	v_and_b32_e32 v157, 0xffff, v117
	v_cmp_lt_u32_e64 s0, 0x47, v52
	v_lshlrev_b32_e32 v114, 3, v155
	v_lshlrev_b32_e32 v115, 3, v156
	s_clause 0x1
	global_load_b64 v[113:114], v114, s[4:5] offset:2800
	global_load_b64 v[115:116], v115, s[4:5] offset:2800
	v_lshlrev_b32_e32 v117, 3, v157
	v_mul_u32_u24_e32 v79, 0xb40, v79
	global_load_b64 v[117:118], v117, s[4:5] offset:2800
	ds_load_2addr_b32 v[119:120], v29 offset0:32 offset1:128
	ds_load_2addr_b32 v[144:145], v139 offset0:96 offset1:192
	;; [unrolled: 1-line block ×3, first 2 shown]
	s_wait_loadcnt_dscnt 0xe02
	v_mul_f32_e32 v159, v120, v84
	v_mul_f32_e32 v160, v19, v84
	s_wait_loadcnt 0xc
	v_mul_f32_e32 v158, v119, v96
	v_mul_f32_e32 v96, v18, v96
	ds_load_2addr_b32 v[148:149], v31 offset0:96 offset1:192
	v_fmac_f32_e32 v160, v120, v83
	v_fma_f32 v84, v18, v95, -v158
	v_fmac_f32_e32 v96, v119, v95
	v_fma_f32 v95, v19, v83, -v159
	ds_load_2addr_b32 v[18:19], v34 offset0:32 offset1:128
	s_wait_dscnt 0x3
	v_mul_f32_e32 v83, v144, v94
	v_mul_f32_e32 v119, v16, v94
	s_wait_loadcnt 0x8
	v_mul_f32_e32 v94, v145, v82
	v_mul_f32_e32 v120, v17, v82
	v_fma_f32 v82, v16, v93, -v83
	v_fmac_f32_e32 v119, v144, v93
	s_wait_dscnt 0x2
	v_mul_f32_e32 v93, v147, v100
	v_fma_f32 v83, v17, v81, -v94
	v_dual_fmac_f32 v120, v145, v81 :: v_dual_mul_f32 v81, v146, v98
	v_mul_f32_e32 v98, v14, v98
	v_mul_f32_e32 v100, v15, v100
	ds_load_2addr_b32 v[16:17], v140 offset0:96 offset1:192
	v_fma_f32 v93, v15, v99, -v93
	v_fma_f32 v81, v14, v97, -v81
	s_wait_dscnt 0x2
	v_mul_f32_e32 v14, v148, v102
	v_fmac_f32_e32 v98, v146, v97
	v_dual_fmac_f32 v100, v147, v99 :: v_dual_mul_f32 v99, v12, v102
	v_sub_f32_e32 v82, v87, v82
	s_delay_alu instid0(VALU_DEP_4)
	v_fma_f32 v12, v12, v101, -v14
	ds_load_2addr_b32 v[14:15], v143 offset0:32 offset1:128
	s_wait_loadcnt_dscnt 0x602
	v_dual_mul_f32 v97, v18, v106 :: v_dual_mul_f32 v94, v149, v104
	v_mul_f32_e32 v102, v13, v104
	v_mul_f32_e32 v104, v8, v106
	v_fmac_f32_e32 v99, v148, v101
	s_delay_alu instid0(VALU_DEP_4)
	v_fma_f32 v8, v8, v105, -v97
	ds_load_b32 v97, v45 offset:11136
	v_fma_f32 v13, v13, v103, -v94
	v_fmac_f32_e32 v102, v149, v103
	v_fmac_f32_e32 v104, v18, v105
	s_wait_loadcnt 0x4
	v_dual_mul_f32 v18, v19, v108 :: v_dual_mul_f32 v103, v10, v110
	v_mul_f32_e32 v101, v9, v108
	s_wait_loadcnt_dscnt 0x302
	v_dual_mul_f32 v105, v17, v112 :: v_dual_mul_f32 v94, v16, v110
	s_delay_alu instid0(VALU_DEP_3) | instskip(SKIP_2) | instid1(VALU_DEP_4)
	v_fma_f32 v9, v9, v107, -v18
	v_fmac_f32_e32 v103, v16, v109
	v_fmac_f32_e32 v101, v19, v107
	v_fma_f32 v16, v11, v111, -v105
	s_wait_loadcnt_dscnt 0x201
	v_dual_mul_f32 v11, v11, v112 :: v_dual_mul_f32 v18, v14, v114
	v_mul_f32_e32 v105, v6, v114
	s_wait_loadcnt 0x1
	v_mul_f32_e32 v19, v15, v116
	v_mul_f32_e32 v106, v7, v116
	v_fma_f32 v10, v10, v109, -v94
	v_fma_f32 v6, v6, v113, -v18
	s_wait_loadcnt_dscnt 0x0
	v_dual_fmac_f32 v105, v14, v113 :: v_dual_mul_f32 v14, v97, v118
	v_dual_sub_f32 v18, v91, v84 :: v_dual_fmac_f32 v11, v17, v111
	ds_load_b32 v107, v28
	ds_load_b32 v108, v30
	;; [unrolled: 1-line block ×7, first 2 shown]
	v_mul_f32_e32 v113, v92, v118
	v_fma_f32 v7, v7, v115, -v19
	v_fmac_f32_e32 v106, v15, v115
	v_fma_f32 v15, v92, v117, -v14
	v_fma_f32 v14, v91, 2.0, -v18
	v_sub_f32_e32 v19, v90, v95
	v_fmac_f32_e32 v113, v97, v117
	ds_load_b32 v114, v67
	ds_load_b32 v115, v65
	;; [unrolled: 1-line block ×8, first 2 shown]
	global_wb scope:SCOPE_SE
	s_wait_dscnt 0x0
	s_barrier_signal -1
	s_barrier_wait -1
	global_inv scope:SCOPE_SE
	ds_store_b32 v45, v14
	ds_store_b32 v45, v18 offset:1440
	v_fma_f32 v14, v90, 2.0, -v19
	s_wait_alu 0xf1ff
	v_cndmask_b32_e64 v18, 0, 0xb40, s0
	v_dual_sub_f32 v83, v86, v83 :: v_dual_lshlrev_b32 v84, 2, v88
	v_fma_f32 v87, v87, 2.0, -v82
	ds_store_b32 v67, v14
	ds_store_b32 v67, v19 offset:1440
	v_sub_f32_e32 v19, v69, v81
	v_sub_f32_e32 v81, v85, v93
	v_lshl_add_u32 v14, v52, 2, 0
	v_add3_u32 v88, 0, v18, v84
	v_sub_f32_e32 v12, v39, v12
	v_lshlrev_b32_e32 v84, 2, v121
	v_sub_f32_e32 v13, v27, v13
	v_fma_f32 v18, v86, 2.0, -v83
	ds_store_b32 v65, v87
	ds_store_b32 v65, v82 offset:1440
	v_fma_f32 v69, v69, 2.0, -v19
	v_fma_f32 v82, v85, 2.0, -v81
	v_add_nc_u32_e32 v87, 0xa00, v14
	v_fma_f32 v39, v39, 2.0, -v12
	v_add_nc_u32_e32 v121, 0xe00, v14
	v_add3_u32 v79, 0, v79, v84
	v_fma_f32 v27, v27, 2.0, -v13
	v_dual_sub_f32 v8, v26, v8 :: v_dual_add_nc_u32 v147, 0x1200, v14
	ds_store_b32 v88, v18
	ds_store_b32 v88, v83 offset:1440
	ds_store_2addr_b32 v87, v69, v82 offset0:104 offset1:200
	ds_store_2addr_b32 v121, v39, v19 offset0:40 offset1:208
	;; [unrolled: 1-line block ×3, first 2 shown]
	v_mul_u32_u24_e32 v12, 0xb40, v152
	v_dual_sub_f32 v9, v24, v9 :: v_dual_lshlrev_b32 v18, 2, v154
	v_sub_f32_e32 v148, v17, v96
	v_sub_f32_e32 v10, v25, v10
	ds_store_b32 v79, v27
	ds_store_b32 v79, v13 offset:1440
	v_fma_f32 v13, v26, 2.0, -v8
	v_lshl_add_u32 v69, v150, 2, 0
	v_sub_f32_e32 v16, v22, v16
	v_sub_f32_e32 v6, v20, v6
	v_add3_u32 v12, 0, v12, v18
	v_fma_f32 v18, v24, 2.0, -v9
	v_lshl_add_u32 v149, v151, 2, 0
	v_sub_f32_e32 v7, v21, v7
	v_fma_f32 v150, v17, 2.0, -v148
	v_fma_f32 v17, v25, 2.0, -v10
	v_sub_f32_e32 v15, v23, v15
	v_lshl_add_u32 v151, v153, 2, 0
	v_fma_f32 v19, v22, 2.0, -v16
	v_fma_f32 v20, v20, 2.0, -v6
	ds_store_b32 v69, v13 offset:5760
	ds_store_b32 v69, v8 offset:7200
	;; [unrolled: 1-line block ×6, first 2 shown]
	v_lshl_add_u32 v8, v155, 2, 0
	v_fma_f32 v21, v21, 2.0, -v7
	v_lshl_add_u32 v9, v156, 2, 0
	v_fma_f32 v22, v23, 2.0, -v15
	v_lshl_add_u32 v10, v157, 2, 0
	ds_store_b32 v12, v19
	ds_store_b32 v12, v16 offset:1440
	ds_store_b32 v8, v20 offset:8640
	;; [unrolled: 1-line block ×7, first 2 shown]
	v_dual_sub_f32 v6, v114, v160 :: v_dual_sub_f32 v7, v115, v119
	global_wb scope:SCOPE_SE
	s_wait_dscnt 0x0
	s_barrier_signal -1
	s_barrier_wait -1
	v_fma_f32 v13, v114, 2.0, -v6
	global_inv scope:SCOPE_SE
	ds_load_b32 v152, v45
	ds_load_b32 v18, v28
	;; [unrolled: 1-line block ×15, first 2 shown]
	ds_load_b32 v153, v45 offset:11136
	ds_load_2addr_b32 v[81:82], v29 offset0:32 offset1:128
	ds_load_2addr_b32 v[83:84], v139 offset0:96 offset1:192
	;; [unrolled: 1-line block ×7, first 2 shown]
	global_wb scope:SCOPE_SE
	s_wait_dscnt 0x0
	s_barrier_signal -1
	s_barrier_wait -1
	global_inv scope:SCOPE_SE
	ds_store_b32 v45, v150
	ds_store_b32 v45, v148 offset:1440
	v_fma_f32 v114, v115, 2.0, -v7
	ds_store_b32 v67, v13
	ds_store_b32 v67, v6 offset:1440
	v_dual_sub_f32 v6, v110, v120 :: v_dual_sub_f32 v13, v109, v98
	v_sub_f32_e32 v98, v112, v100
	ds_store_b32 v65, v114
	ds_store_b32 v65, v7 offset:1440
	v_sub_f32_e32 v99, v107, v99
	v_fma_f32 v7, v110, 2.0, -v6
	v_fma_f32 v100, v109, 2.0, -v13
	;; [unrolled: 1-line block ×3, first 2 shown]
	v_sub_f32_e32 v102, v108, v102
	ds_store_b32 v88, v7
	ds_store_b32 v88, v6 offset:1440
	v_fma_f32 v6, v107, 2.0, -v99
	v_sub_f32_e32 v7, v116, v104
	ds_store_2addr_b32 v87, v100, v109 offset0:104 offset1:200
	v_sub_f32_e32 v87, v117, v101
	v_fma_f32 v88, v108, 2.0, -v102
	ds_store_2addr_b32 v121, v6, v13 offset0:40 offset1:208
	ds_store_2addr_b32 v147, v98, v99 offset0:48 offset1:144
	v_sub_f32_e32 v98, v111, v103
	v_sub_f32_e32 v11, v118, v11
	v_dual_sub_f32 v99, v144, v105 :: v_dual_sub_f32 v100, v145, v106
	v_sub_f32_e32 v101, v146, v113
	v_fma_f32 v6, v116, 2.0, -v7
	v_fma_f32 v13, v117, 2.0, -v87
	;; [unrolled: 1-line block ×7, first 2 shown]
	ds_store_b32 v79, v88
	ds_store_b32 v79, v102 offset:1440
	ds_store_b32 v69, v6 offset:5760
	;; [unrolled: 1-line block ×7, first 2 shown]
	ds_store_b32 v12, v104
	ds_store_b32 v12, v11 offset:1440
	ds_store_b32 v8, v105 offset:8640
	;; [unrolled: 1-line block ×7, first 2 shown]
	v_lshlrev_b64_e32 v[6:7], 3, v[77:78]
	v_lshlrev_b64_e32 v[8:9], 3, v[75:76]
	;; [unrolled: 1-line block ×3, first 2 shown]
	global_wb scope:SCOPE_SE
	s_wait_dscnt 0x0
	s_barrier_signal -1
	s_barrier_wait -1
	v_add_co_u32 v6, s0, s4, v6
	s_wait_alu 0xf1ff
	v_add_co_ci_u32_e64 v7, s0, s5, v7, s0
	global_inv scope:SCOPE_SE
	s_clause 0x3
	global_load_b64 v[75:76], v[0:1], off offset:5680
	global_load_b64 v[77:78], v[2:3], off offset:5680
	;; [unrolled: 1-line block ×4, first 2 shown]
	v_add_co_u32 v8, s0, s4, v8
	s_wait_alu 0xf1ff
	v_add_co_ci_u32_e64 v9, s0, s5, v9, s0
	v_add_co_u32 v10, s0, s4, v10
	s_wait_alu 0xf1ff
	v_add_co_ci_u32_e64 v11, s0, s5, v11, s0
	v_subrev_nc_u32_e32 v12, 48, v52
	v_cmp_gt_u32_e64 s0, 48, v52
	s_wait_alu 0xf1ff
	s_delay_alu instid0(VALU_DEP_1)
	v_cndmask_b32_e64 v88, v12, v60, s0
	v_lshlrev_b64_e32 v[12:13], 3, v[71:72]
	s_clause 0x1
	global_load_b64 v[71:72], v[8:9], off offset:5680
	global_load_b64 v[73:74], v[10:11], off offset:5680
	v_lshlrev_b64_e32 v[102:103], 3, v[88:89]
	v_add_co_u32 v12, s0, s4, v12
	s_wait_alu 0xf1ff
	v_add_co_ci_u32_e64 v13, s0, s5, v13, s0
	s_delay_alu instid0(VALU_DEP_3)
	v_add_co_u32 v102, s0, s4, v102
	s_wait_alu 0xf1ff
	v_add_co_ci_u32_e64 v103, s0, s5, v103, s0
	s_clause 0x8
	global_load_b64 v[104:105], v[12:13], off offset:5680
	global_load_b64 v[102:103], v[102:103], off offset:5680
	;; [unrolled: 1-line block ×9, first 2 shown]
	ds_load_2addr_b32 v[120:121], v29 offset0:32 offset1:128
	ds_load_2addr_b32 v[144:145], v139 offset0:96 offset1:192
	ds_load_2addr_b32 v[146:147], v51 offset0:32 offset1:128
	v_cmp_lt_u32_e64 s0, 47, v52
	s_wait_loadcnt_dscnt 0xe02
	v_mul_f32_e32 v69, v120, v76
	v_mul_f32_e32 v79, v81, v76
	s_delay_alu instid0(VALU_DEP_2) | instskip(SKIP_2) | instid1(VALU_DEP_3)
	v_fma_f32 v69, v81, v75, -v69
	s_wait_loadcnt 0xd
	v_mul_f32_e32 v81, v121, v78
	v_dual_fmac_f32 v79, v120, v75 :: v_dual_mul_f32 v120, v82, v78
	s_wait_loadcnt_dscnt 0xc01
	v_mul_f32_e32 v78, v144, v99
	ds_load_2addr_b32 v[75:76], v31 offset0:96 offset1:192
	v_mul_f32_e32 v99, v83, v99
	v_fma_f32 v87, v82, v77, -v81
	s_wait_loadcnt 0xb
	v_mul_f32_e32 v81, v145, v101
	v_fmac_f32_e32 v120, v121, v77
	v_fma_f32 v83, v83, v98, -v78
	v_fmac_f32_e32 v99, v144, v98
	ds_load_2addr_b32 v[77:78], v34 offset0:32 offset1:128
	v_fma_f32 v98, v84, v100, -v81
	s_wait_loadcnt_dscnt 0xa02
	v_dual_mul_f32 v101, v84, v101 :: v_dual_mul_f32 v84, v146, v72
	s_wait_loadcnt 0x9
	v_dual_mul_f32 v121, v85, v72 :: v_dual_mul_f32 v72, v147, v74
	v_mul_f32_e32 v144, v86, v74
	ds_load_2addr_b32 v[81:82], v140 offset0:96 offset1:192
	v_fma_f32 v74, v85, v71, -v84
	v_fmac_f32_e32 v121, v146, v71
	v_fma_f32 v84, v86, v73, -v72
	ds_load_2addr_b32 v[71:72], v143 offset0:32 offset1:128
	s_wait_loadcnt 0x8
	v_dual_fmac_f32 v101, v145, v100 :: v_dual_mul_f32 v100, v90, v105
	s_wait_loadcnt_dscnt 0x703
	v_mul_f32_e32 v85, v76, v103
	v_mul_f32_e32 v103, v91, v103
	v_fmac_f32_e32 v144, v147, v73
	v_mul_f32_e32 v73, v75, v105
	v_fmac_f32_e32 v100, v75, v104
	v_fma_f32 v85, v91, v102, -v85
	s_wait_loadcnt_dscnt 0x602
	v_mul_f32_e32 v75, v77, v107
	s_wait_loadcnt 0x5
	v_dual_fmac_f32 v103, v76, v102 :: v_dual_mul_f32 v76, v78, v109
	s_wait_loadcnt 0x4
	v_dual_mul_f32 v91, v93, v109 :: v_dual_mul_f32 v102, v94, v111
	v_fma_f32 v73, v90, v104, -v73
	v_mul_f32_e32 v90, v92, v107
	v_fma_f32 v75, v92, v106, -v75
	s_wait_dscnt 0x1
	v_mul_f32_e32 v86, v81, v111
	ds_load_b32 v92, v45 offset:11136
	v_fma_f32 v76, v93, v108, -v76
	v_fmac_f32_e32 v91, v78, v108
	s_wait_loadcnt 0x3
	v_mul_f32_e32 v78, v82, v113
	v_dual_fmac_f32 v102, v81, v110 :: v_dual_mul_f32 v93, v95, v113
	s_wait_loadcnt_dscnt 0x201
	v_dual_mul_f32 v81, v71, v115 :: v_dual_fmac_f32 v90, v77, v106
	v_fma_f32 v77, v94, v110, -v86
	v_mul_f32_e32 v94, v96, v115
	v_fma_f32 v78, v95, v112, -v78
	v_fmac_f32_e32 v93, v82, v112
	v_fma_f32 v81, v96, v114, -v81
	ds_load_b32 v95, v28
	ds_load_b32 v96, v30
	;; [unrolled: 1-line block ×7, first 2 shown]
	s_wait_loadcnt 0x0
	v_mul_f32_e32 v109, v153, v119
	v_sub_f32_e32 v69, v152, v69
	v_dual_sub_f32 v87, v39, v87 :: v_dual_mul_f32 v86, v72, v117
	v_dual_fmac_f32 v94, v71, v114 :: v_dual_mul_f32 v71, v97, v117
	s_wait_dscnt 0x7
	v_mul_f32_e32 v108, v92, v119
	v_fmac_f32_e32 v109, v92, v118
	v_fma_f32 v92, v152, 2.0, -v69
	v_dual_sub_f32 v83, v26, v83 :: v_dual_sub_f32 v98, v27, v98
	v_fma_f32 v39, v39, 2.0, -v87
	v_fma_f32 v86, v97, v116, -v86
	v_fmac_f32_e32 v71, v72, v116
	v_fma_f32 v72, v153, v118, -v108
	ds_load_b32 v97, v67
	ds_load_b32 v108, v65
	;; [unrolled: 1-line block ×8, first 2 shown]
	global_wb scope:SCOPE_SE
	s_wait_dscnt 0x0
	s_barrier_signal -1
	s_barrier_wait -1
	global_inv scope:SCOPE_SE
	ds_store_b32 v45, v92
	ds_store_b32 v45, v69 offset:2880
	v_fma_f32 v26, v26, 2.0, -v83
	v_fma_f32 v27, v27, 2.0, -v98
	v_sub_f32_e32 v69, v82, v79
	ds_store_b32 v67, v39
	ds_store_b32 v67, v87 offset:2880
	ds_store_b32 v65, v26
	ds_store_b32 v65, v83 offset:2880
	v_dual_sub_f32 v26, v24, v74 :: v_dual_sub_f32 v73, v18, v73
	v_dual_sub_f32 v77, v23, v77 :: v_dual_sub_f32 v78, v21, v78
	v_fma_f32 v92, v82, 2.0, -v69
	v_dual_sub_f32 v90, v110, v90 :: v_dual_sub_f32 v39, v25, v84
	v_sub_f32_e32 v74, v19, v85
	v_sub_f32_e32 v79, v16, v81
	;; [unrolled: 1-line block ×3, first 2 shown]
	ds_store_b32 v141, v27
	ds_store_b32 v141, v98 offset:2880
	s_wait_alu 0xf1ff
	v_cndmask_b32_e64 v27, 0, 0x1680, s0
	v_lshlrev_b32_e32 v82, 2, v88
	v_dual_sub_f32 v72, v15, v72 :: v_dual_sub_f32 v75, v22, v75
	v_sub_f32_e32 v76, v20, v76
	v_fma_f32 v24, v24, 2.0, -v26
	v_fma_f32 v18, v18, 2.0, -v73
	;; [unrolled: 1-line block ×4, first 2 shown]
	v_add_nc_u32_e32 v117, 0x1800, v14
	v_add_nc_u32_e32 v118, 0x2600, v14
	v_fma_f32 v25, v25, 2.0, -v39
	v_fma_f32 v19, v19, 2.0, -v74
	;; [unrolled: 1-line block ×4, first 2 shown]
	v_add3_u32 v88, 0, v27, v82
	v_add_nc_u32_e32 v119, 0x1c00, v14
	v_fma_f32 v15, v15, 2.0, -v72
	v_add_nc_u32_e32 v145, 0x2000, v14
	v_fma_f32 v22, v22, 2.0, -v75
	v_fma_f32 v20, v20, 2.0, -v76
	v_add_nc_u32_e32 v98, 0x1600, v14
	v_add_nc_u32_e32 v146, 0x2800, v14
	ds_store_b32 v142, v24
	ds_store_b32 v142, v26 offset:2880
	ds_store_b32 v47, v25
	ds_store_b32 v47, v39 offset:2880
	v_add_nc_u32_e32 v116, 0x2400, v14
	ds_store_b32 v28, v18
	ds_store_b32 v28, v73 offset:2880
	ds_store_b32 v88, v19
	ds_store_b32 v88, v74 offset:2880
	ds_store_2addr_b32 v98, v22, v20 offset0:80 offset1:176
	ds_store_2addr_b32 v116, v76, v77 offset1:96
	ds_store_2addr_b32 v117, v23, v21 offset0:144 offset1:240
	ds_store_2addr_b32 v118, v78, v79 offset0:64 offset1:160
	;; [unrolled: 1-line block ×5, first 2 shown]
	global_wb scope:SCOPE_SE
	s_wait_dscnt 0x0
	s_barrier_signal -1
	s_barrier_wait -1
	global_inv scope:SCOPE_SE
	ds_load_b32 v84, v45
	ds_load_b32 v39, v28
	;; [unrolled: 1-line block ×15, first 2 shown]
	ds_load_b32 v83, v45 offset:11136
	ds_load_2addr_b32 v[24:25], v29 offset0:32 offset1:128
	ds_load_2addr_b32 v[26:27], v139 offset0:96 offset1:192
	;; [unrolled: 1-line block ×6, first 2 shown]
	v_sub_f32_e32 v120, v97, v120
	ds_load_2addr_b32 v[22:23], v143 offset0:32 offset1:128
	global_wb scope:SCOPE_SE
	s_wait_dscnt 0x0
	s_barrier_signal -1
	s_barrier_wait -1
	v_fma_f32 v97, v97, 2.0, -v120
	v_sub_f32_e32 v99, v108, v99
	global_inv scope:SCOPE_SE
	ds_store_b32 v45, v92
	ds_store_b32 v45, v69 offset:2880
	v_sub_f32_e32 v69, v105, v101
	v_sub_f32_e32 v101, v104, v121
	v_fma_f32 v92, v108, 2.0, -v99
	ds_store_b32 v67, v97
	ds_store_b32 v67, v120 offset:2880
	v_sub_f32_e32 v67, v107, v144
	v_fma_f32 v97, v105, 2.0, -v69
	v_fma_f32 v104, v104, 2.0, -v101
	ds_store_b32 v65, v92
	ds_store_b32 v65, v99 offset:2880
	ds_store_b32 v141, v97
	ds_store_b32 v141, v69 offset:2880
	;; [unrolled: 2-line block ×3, first 2 shown]
	v_fma_f32 v65, v107, 2.0, -v67
	v_dual_sub_f32 v69, v95, v100 :: v_dual_sub_f32 v92, v96, v103
	v_sub_f32_e32 v91, v111, v91
	ds_store_b32 v47, v65
	ds_store_b32 v47, v67 offset:2880
	v_fma_f32 v65, v95, 2.0, -v69
	v_sub_f32_e32 v97, v106, v102
	v_dual_sub_f32 v93, v112, v93 :: v_dual_sub_f32 v94, v113, v94
	v_sub_f32_e32 v71, v114, v71
	v_sub_f32_e32 v99, v115, v109
	v_fma_f32 v67, v96, 2.0, -v92
	v_fma_f32 v95, v110, 2.0, -v90
	;; [unrolled: 1-line block ×8, first 2 shown]
	ds_store_b32 v28, v65
	ds_store_b32 v28, v69 offset:2880
	ds_store_b32 v88, v67
	ds_store_b32 v88, v92 offset:2880
	ds_store_2addr_b32 v98, v95, v96 offset0:80 offset1:176
	ds_store_2addr_b32 v116, v91, v97 offset1:96
	ds_store_2addr_b32 v117, v100, v101 offset0:144 offset1:240
	ds_store_2addr_b32 v118, v93, v94 offset0:64 offset1:160
	;; [unrolled: 1-line block ×5, first 2 shown]
	global_wb scope:SCOPE_SE
	s_wait_dscnt 0x0
	s_barrier_signal -1
	s_barrier_wait -1
	global_inv scope:SCOPE_SE
	s_and_saveexec_b32 s0, vcc_lo
	s_cbranch_execz .LBB0_15
; %bb.14:
	v_mov_b32_e32 v71, v89
	v_mad_co_u64_u32 v[108:109], null, s8, v133, 0
	v_mov_b32_e32 v65, v89
	v_mov_b32_e32 v69, v89
	;; [unrolled: 1-line block ×3, first 2 shown]
	v_mad_co_u64_u32 v[110:111], null, s8, v46, 0
	s_delay_alu instid0(VALU_DEP_4)
	v_lshlrev_b64_e32 v[90:91], 3, v[64:65]
	v_mov_b32_e32 v64, v89
	v_lshlrev_b64_e32 v[70:71], 3, v[70:71]
	v_lshlrev_b64_e32 v[68:69], 3, v[68:69]
	;; [unrolled: 1-line block ×3, first 2 shown]
	v_mad_co_u64_u32 v[112:113], null, s8, v134, 0
	v_lshlrev_b64_e32 v[64:65], 3, v[63:64]
	v_add_co_u32 v70, vcc_lo, s4, v70
	s_wait_alu 0xfffd
	v_add_co_ci_u32_e32 v71, vcc_lo, s5, v71, vcc_lo
	v_add_co_u32 v68, vcc_lo, s4, v68
	s_wait_alu 0xfffd
	v_add_co_ci_u32_e32 v69, vcc_lo, s5, v69, vcc_lo
	s_clause 0x4
	global_load_b64 v[6:7], v[6:7], off offset:11440
	global_load_b64 v[70:71], v[70:71], off offset:11440
	;; [unrolled: 1-line block ×5, first 2 shown]
	v_add_co_u32 v0, vcc_lo, s4, v66
	v_mov_b32_e32 v63, v89
	s_wait_alu 0xfffd
	v_add_co_ci_u32_e32 v1, vcc_lo, s5, v67, vcc_lo
	v_add_co_u32 v66, vcc_lo, s4, v90
	s_wait_alu 0xfffd
	v_add_co_ci_u32_e32 v67, vcc_lo, s5, v91, vcc_lo
	v_lshlrev_b64_e32 v[90:91], 3, v[62:63]
	v_mov_b32_e32 v62, v89
	v_add_co_u32 v64, vcc_lo, s4, v64
	s_wait_alu 0xfffd
	v_add_co_ci_u32_e32 v65, vcc_lo, s5, v65, vcc_lo
	s_clause 0x3
	global_load_b64 v[68:69], v[68:69], off offset:11440
	global_load_b64 v[94:95], v[0:1], off offset:11440
	;; [unrolled: 1-line block ×4, first 2 shown]
	v_lshlrev_b64_e32 v[0:1], 3, v[61:62]
	v_mov_b32_e32 v61, v89
	v_add_co_u32 v88, vcc_lo, s4, v90
	s_wait_alu 0xfffd
	v_add_co_ci_u32_e32 v89, vcc_lo, s5, v91, vcc_lo
	s_delay_alu instid0(VALU_DEP_3) | instskip(SKIP_4) | instid1(VALU_DEP_4)
	v_lshlrev_b64_e32 v[60:61], 3, v[60:61]
	v_add_co_u32 v0, vcc_lo, s4, v0
	s_wait_alu 0xfffd
	v_add_co_ci_u32_e32 v1, vcc_lo, s5, v1, vcc_lo
	v_mul_i32_i24_e32 v62, 0xffffffdc, v56
	v_add_co_u32 v60, vcc_lo, s4, v60
	s_wait_alu 0xfffd
	v_add_co_ci_u32_e32 v61, vcc_lo, s5, v61, vcc_lo
	s_clause 0x5
	global_load_b64 v[88:89], v[88:89], off offset:11440
	global_load_b64 v[90:91], v[0:1], off offset:11440
	;; [unrolled: 1-line block ×6, first 2 shown]
	v_add_co_u32 v0, vcc_lo, s10, v54
	ds_load_2addr_b32 v[96:97], v143 offset0:32 offset1:128
	ds_load_2addr_b32 v[98:99], v140 offset0:96 offset1:192
	;; [unrolled: 1-line block ×3, first 2 shown]
	ds_load_b32 v143, v38
	ds_load_b32 v144, v37
	;; [unrolled: 1-line block ×6, first 2 shown]
	ds_load_2addr_b32 v[31:32], v31 offset0:96 offset1:192
	ds_load_b32 v149, v30
	ds_load_b32 v150, v28
	ds_load_b32 v142, v142
	ds_load_b32 v151, v141
	ds_load_b32 v152, v49
	ds_load_b32 v153, v47
	ds_load_2addr_b32 v[33:34], v51 offset0:32 offset1:128
	ds_load_2addr_b32 v[35:36], v139 offset0:96 offset1:192
	;; [unrolled: 1-line block ×3, first 2 shown]
	ds_load_b32 v154, v45 offset:11136
	ds_load_b32 v155, v45
	v_mul_lo_u32 v30, s9, v52
	v_mul_lo_u32 v45, s8, v53
	v_mad_co_u64_u32 v[37:38], null, s8, v52, 0
	v_mad_co_u64_u32 v[51:52], null, s8, v136, 0
	s_wait_alu 0xfffd
	v_add_co_ci_u32_e32 v1, vcc_lo, s11, v55, vcc_lo
	v_mad_co_u64_u32 v[53:54], null, s8, v48, 0
	v_mad_co_u64_u32 v[55:56], null, s8, v137, 0
	v_mul_i32_i24_e32 v58, 0xffffffdc, v58
	v_mad_co_u64_u32 v[102:103], null, s8, v44, 0
	v_mad_co_u64_u32 v[116:117], null, s8, v135, 0
	;; [unrolled: 1-line block ×7, first 2 shown]
	v_dual_mov_b32 v62, v117 :: v_dual_add_nc_u32 v139, v43, v62
	v_add3_u32 v38, v38, v45, v30
	v_mov_b32_e32 v30, v52
	v_dual_mov_b32 v41, v54 :: v_dual_add_nc_u32 v140, v41, v58
	v_dual_mov_b32 v43, v56 :: v_dual_mov_b32 v58, v115
	v_mov_b32_e32 v65, v119
	v_mov_b32_e32 v119, v121
	ds_load_b32 v121, v139
	ds_load_b32 v156, v140
	s_wait_dscnt 0xd
	v_mad_co_u64_u32 v[139:140], null, s9, v136, v[30:31]
	v_mov_b32_e32 v45, v103
	v_mad_co_u64_u32 v[140:141], null, s9, v48, v[41:42]
	v_mov_b32_e32 v47, v105
	v_mad_co_u64_u32 v[136:137], null, s9, v137, v[43:44]
	v_dual_mov_b32 v49, v107 :: v_dual_mov_b32 v52, v109
	v_mad_co_u64_u32 v[43:44], null, s9, v44, v[45:46]
	s_delay_alu instid0(VALU_DEP_4) | instskip(NEXT) | instid1(VALU_DEP_3)
	v_mad_co_u64_u32 v[44:45], null, s9, v138, v[47:48]
	v_mad_co_u64_u32 v[47:48], null, s9, v50, v[49:50]
	s_delay_alu instid0(VALU_DEP_4) | instskip(SKIP_4) | instid1(VALU_DEP_4)
	v_mad_co_u64_u32 v[48:49], null, s9, v133, v[52:53]
	v_mov_b32_e32 v54, v111
	v_mad_co_u64_u32 v[41:42], null, s9, v42, v[58:59]
	v_mov_b32_e32 v52, v139
	v_mov_b32_e32 v56, v113
	v_mad_co_u64_u32 v[45:46], null, s9, v46, v[54:55]
	v_dual_mov_b32 v54, v140 :: v_dual_mov_b32 v109, v48
	v_lshlrev_b64_e32 v[37:38], 3, v[37:38]
	v_mov_b32_e32 v103, v43
	v_mov_b32_e32 v105, v44
	v_mov_b32_e32 v107, v47
	v_lshlrev_b64_e32 v[43:44], 3, v[53:54]
	v_lshlrev_b64_e32 v[53:54], 3, v[108:109]
	v_mad_co_u64_u32 v[49:50], null, s9, v134, v[56:57]
	v_mov_b32_e32 v56, v136
	v_add_co_u32 v37, vcc_lo, v0, v37
	s_wait_alu 0xfffd
	v_add_co_ci_u32_e32 v38, vcc_lo, v1, v38, vcc_lo
	s_wait_loadcnt_dscnt 0xe05
	v_dual_mul_f32 v30, v6, v36 :: v_dual_mov_b32 v111, v45
	v_lshlrev_b64_e32 v[45:46], 3, v[55:56]
	v_mul_f32_e32 v36, v7, v36
	s_wait_loadcnt_dscnt 0xa04
	v_mul_f32_e32 v108, v92, v28
	v_dual_fmac_f32 v30, v27, v7 :: v_dual_mov_b32 v115, v41
	v_lshlrev_b64_e32 v[41:42], 3, v[51:52]
	v_mul_f32_e32 v58, v4, v35
	s_delay_alu instid0(VALU_DEP_4)
	v_dual_fmac_f32 v108, v24, v93 :: v_dual_mul_f32 v35, v5, v35
	v_mul_f32_e32 v28, v93, v28
	v_lshlrev_b64_e32 v[47:48], 3, v[102:103]
	v_add_co_u32 v41, vcc_lo, v0, v41
	s_wait_alu 0xfffd
	v_add_co_ci_u32_e32 v42, vcc_lo, v1, v42, vcc_lo
	v_add_co_u32 v43, vcc_lo, v0, v43
	v_dual_mov_b32 v113, v49 :: v_dual_fmac_f32 v58, v26, v5
	s_wait_loadcnt 0x6
	v_mad_co_u64_u32 v[133:134], null, s9, v135, v[62:63]
	v_mul_f32_e32 v62, v2, v29
	v_mul_f32_e32 v29, v3, v29
	s_wait_alu 0xfffd
	v_add_co_ci_u32_e32 v44, vcc_lo, v1, v44, vcc_lo
	v_fma_f32 v6, v27, v6, -v36
	v_fmac_f32_e32 v62, v25, v3
	v_fma_f32 v4, v26, v4, -v35
	v_fma_f32 v25, v25, v2, -v29
	;; [unrolled: 1-line block ×3, first 2 shown]
	v_lshlrev_b64_e32 v[49:50], 3, v[104:105]
	v_add_co_u32 v45, vcc_lo, v0, v45
	s_wait_alu 0xfffd
	v_add_co_ci_u32_e32 v46, vcc_lo, v1, v46, vcc_lo
	v_lshlrev_b64_e32 v[51:52], 3, v[106:107]
	v_add_co_u32 v47, vcc_lo, v0, v47
	v_dual_mov_b32 v117, v133 :: v_dual_sub_f32 v2, v87, v6
	v_dual_sub_f32 v3, v151, v30 :: v_dual_sub_f32 v6, v85, v25
	s_wait_dscnt 0x1
	v_dual_sub_f32 v5, v121, v58 :: v_dual_sub_f32 v24, v84, v24
	v_sub_f32_e32 v4, v86, v4
	v_dual_sub_f32 v25, v155, v108 :: v_dual_mul_f32 v30, v70, v154
	s_wait_alu 0xfffd
	v_add_co_ci_u32_e32 v48, vcc_lo, v1, v48, vcc_lo
	v_add_co_u32 v49, vcc_lo, v0, v49
	s_wait_dscnt 0x0
	v_sub_f32_e32 v7, v156, v62
	s_wait_alu 0xfffd
	v_add_co_ci_u32_e32 v50, vcc_lo, v1, v50, vcc_lo
	v_lshlrev_b64_e32 v[55:56], 3, v[110:111]
	v_lshlrev_b64_e32 v[102:103], 3, v[112:113]
	v_add_co_u32 v51, vcc_lo, v0, v51
	v_fma_f32 v26, v87, 2.0, -v2
	v_fma_f32 v28, v86, 2.0, -v4
	v_mul_f32_e32 v86, v69, v97
	v_fma_f32 v35, v85, 2.0, -v6
	v_fma_f32 v85, v155, 2.0, -v25
	;; [unrolled: 1-line block ×3, first 2 shown]
	v_dual_mul_f32 v58, v71, v154 :: v_dual_mul_f32 v87, v94, v96
	v_dual_mul_f32 v62, v68, v97 :: v_dual_mul_f32 v93, v66, v99
	v_mul_f32_e32 v92, v95, v96
	v_mul_f32_e32 v96, v67, v99
	s_wait_loadcnt 0x4
	v_dual_mul_f32 v97, v63, v98 :: v_dual_mul_f32 v108, v90, v100
	v_mul_f32_e32 v98, v64, v98
	v_mul_f32_e32 v99, v88, v101
	v_dual_mul_f32 v101, v89, v101 :: v_dual_mul_f32 v100, v91, v100
	s_wait_loadcnt 0x1
	v_mul_f32_e32 v111, v10, v34
	v_dual_mul_f32 v109, v60, v32 :: v_dual_mul_f32 v34, v11, v34
	v_dual_mul_f32 v32, v61, v32 :: v_dual_fmac_f32 v87, v22, v95
	v_mul_f32_e32 v110, v12, v31
	s_wait_loadcnt 0x0
	v_dual_mul_f32 v31, v13, v31 :: v_dual_mul_f32 v112, v8, v33
	v_fmac_f32_e32 v93, v21, v67
	v_mul_f32_e32 v33, v9, v33
	s_wait_alu 0xfffd
	v_add_co_ci_u32_e32 v52, vcc_lo, v1, v52, vcc_lo
	v_fma_f32 v36, v156, 2.0, -v7
	v_add_co_u32 v53, vcc_lo, v0, v53
	v_fma_f32 v29, v121, 2.0, -v5
	s_wait_alu 0xfffd
	v_add_co_ci_u32_e32 v54, vcc_lo, v1, v54, vcc_lo
	v_fma_f32 v27, v151, 2.0, -v3
	s_clause 0x7
	global_store_b64 v[37:38], v[84:85], off
	global_store_b64 v[41:42], v[24:25], off
	;; [unrolled: 1-line block ×8, first 2 shown]
	v_dual_fmac_f32 v30, v83, v71 :: v_dual_fmac_f32 v97, v20, v64
	v_fma_f32 v2, v83, v70, -v58
	v_dual_fmac_f32 v62, v23, v69 :: v_dual_sub_f32 v7, v145, v87
	v_fma_f32 v4, v23, v68, -v86
	v_fma_f32 v6, v22, v94, -v92
	v_dual_fmac_f32 v99, v19, v89 :: v_dual_fmac_f32 v108, v18, v91
	v_fma_f32 v19, v19, v88, -v101
	v_fma_f32 v18, v18, v90, -v100
	v_dual_fmac_f32 v109, v17, v61 :: v_dual_sub_f32 v2, v82, v2
	v_fma_f32 v22, v17, v60, -v32
	v_dual_fmac_f32 v110, v16, v13 :: v_dual_fmac_f32 v111, v15, v11
	v_fma_f32 v23, v16, v12, -v31
	v_dual_fmac_f32 v112, v14, v9 :: v_dual_sub_f32 v3, v143, v30
	v_fma_f32 v25, v14, v8, -v33
	v_sub_f32_e32 v12, v74, v19
	v_sub_f32_e32 v14, v73, v18
	v_dual_sub_f32 v17, v149, v109 :: v_dual_sub_f32 v16, v72, v22
	v_dual_sub_f32 v19, v150, v110 :: v_dual_sub_f32 v18, v39, v23
	;; [unrolled: 1-line block ×3, first 2 shown]
	v_add_co_u32 v55, vcc_lo, v0, v55
	s_wait_alu 0xfffd
	v_add_co_ci_u32_e32 v56, vcc_lo, v1, v56, vcc_lo
	v_add_co_u32 v102, vcc_lo, v0, v102
	v_fma_f32 v44, v142, 2.0, -v23
	v_fma_f32 v43, v76, 2.0, -v22
	s_wait_alu 0xfffd
	v_add_co_ci_u32_e32 v103, vcc_lo, v1, v103, vcc_lo
	s_clause 0x1
	global_store_b64 v[55:56], v[43:44], off
	global_store_b64 v[102:103], v[22:23], off
	v_mad_co_u64_u32 v[22:23], null, s9, v40, v[65:66]
	v_mad_co_u64_u32 v[47:48], null, s8, v129, 0
	v_lshlrev_b64_e32 v[104:105], 3, v[114:115]
	v_fma_f32 v21, v21, v66, -v96
	v_fma_f32 v20, v20, v63, -v98
	v_fma_f32 v24, v15, v10, -v34
	v_lshlrev_b64_e32 v[106:107], 3, v[116:117]
	v_sub_f32_e32 v9, v146, v93
	v_add_co_u32 v104, vcc_lo, v0, v104
	v_sub_f32_e32 v10, v79, v20
	v_dual_sub_f32 v8, v77, v21 :: v_dual_sub_f32 v13, v147, v99
	v_dual_sub_f32 v21, v153, v111 :: v_dual_sub_f32 v20, v75, v24
	v_mad_co_u64_u32 v[43:44], null, s9, v132, v[119:120]
	v_dual_mov_b32 v119, v22 :: v_dual_mov_b32 v22, v48
	s_wait_alu 0xfffd
	v_add_co_ci_u32_e32 v105, vcc_lo, v1, v105, vcc_lo
	v_add_co_u32 v49, vcc_lo, v0, v106
	v_fma_f32 v45, v39, 2.0, -v18
	v_fma_f32 v39, v153, 2.0, -v21
	;; [unrolled: 1-line block ×3, first 2 shown]
	s_wait_alu 0xfffd
	v_add_co_ci_u32_e32 v50, vcc_lo, v1, v107, vcc_lo
	v_mad_co_u64_u32 v[22:23], null, s9, v129, v[22:23]
	v_mov_b32_e32 v121, v43
	s_clause 0x1
	global_store_b64 v[104:105], v[38:39], off
	global_store_b64 v[49:50], v[20:21], off
	v_mad_co_u64_u32 v[49:50], null, s8, v128, 0
	v_lshlrev_b64_e32 v[20:21], 3, v[118:119]
	v_mov_b32_e32 v48, v22
	v_lshlrev_b64_e32 v[38:39], 3, v[120:121]
	v_mad_co_u64_u32 v[43:44], null, s8, v131, 0
	v_fma_f32 v42, v149, 2.0, -v17
	v_mov_b32_e32 v23, v50
	v_add_co_u32 v20, vcc_lo, v0, v20
	v_lshlrev_b64_e32 v[47:48], 3, v[47:48]
	s_wait_alu 0xfffd
	v_add_co_ci_u32_e32 v21, vcc_lo, v1, v21, vcc_lo
	v_add_co_u32 v38, vcc_lo, v0, v38
	s_wait_alu 0xfffd
	v_add_co_ci_u32_e32 v39, vcc_lo, v1, v39, vcc_lo
	v_add_co_u32 v47, vcc_lo, v0, v47
	v_fma_f32 v41, v72, 2.0, -v16
	v_fma_f32 v46, v150, 2.0, -v19
	s_wait_alu 0xfffd
	v_add_co_ci_u32_e32 v48, vcc_lo, v1, v48, vcc_lo
	s_clause 0x2
	global_store_b64 v[20:21], v[45:46], off
	global_store_b64 v[38:39], v[18:19], off
	;; [unrolled: 1-line block ×3, first 2 shown]
	v_mad_co_u64_u32 v[40:41], null, s8, v80, 0
	v_mov_b32_e32 v22, v44
	v_fma_f32 v24, v82, 2.0, -v2
	v_lshrrev_b32_e32 v42, 5, v126
	v_sub_f32_e32 v15, v148, v108
	v_fma_f32 v36, v73, 2.0, -v14
	v_mad_co_u64_u32 v[50:51], null, s9, v131, v[22:23]
	v_mad_co_u64_u32 v[51:52], null, s8, v130, 0
	;; [unrolled: 1-line block ×3, first 2 shown]
	v_fma_f32 v37, v148, 2.0, -v15
	v_fma_f32 v35, v147, 2.0, -v13
	v_mov_b32_e32 v44, v50
	v_fma_f32 v34, v74, 2.0, -v12
	v_mov_b32_e32 v18, v52
	v_dual_sub_f32 v6, v78, v6 :: v_dual_sub_f32 v11, v152, v97
	s_delay_alu instid0(VALU_DEP_4)
	v_lshlrev_b64_e32 v[19:20], 3, v[43:44]
	v_mov_b32_e32 v50, v22
	v_fma_f32 v32, v79, 2.0, -v10
	v_fma_f32 v31, v146, 2.0, -v9
	;; [unrolled: 1-line block ×4, first 2 shown]
	v_mad_co_u64_u32 v[21:22], null, s9, v130, v[18:19]
	v_mad_co_u64_u32 v[22:23], null, s8, v127, 0
	v_add_co_u32 v18, vcc_lo, v0, v19
	v_lshlrev_b64_e32 v[38:39], 3, v[49:50]
	s_wait_alu 0xfffd
	v_add_co_ci_u32_e32 v19, vcc_lo, v1, v20, vcc_lo
	v_mov_b32_e32 v52, v21
	v_mov_b32_e32 v20, v23
	v_mul_hi_u32 v23, 0x5b05b06, v42
	v_add_co_u32 v38, vcc_lo, v0, v38
	s_delay_alu instid0(VALU_DEP_4) | instskip(NEXT) | instid1(VALU_DEP_4)
	v_lshlrev_b64_e32 v[42:43], 3, v[51:52]
	v_mad_co_u64_u32 v[20:21], null, s9, v127, v[20:21]
	s_wait_alu 0xfffd
	v_add_co_ci_u32_e32 v39, vcc_lo, v1, v39, vcc_lo
	v_mov_b32_e32 v21, v41
	v_mad_u32_u24 v46, 0x5a0, v23, v126
	v_add_co_u32 v41, vcc_lo, v0, v42
	s_wait_alu 0xfffd
	v_add_co_ci_u32_e32 v42, vcc_lo, v1, v43, vcc_lo
	v_mad_co_u64_u32 v[43:44], null, s9, v80, v[21:22]
	v_mad_co_u64_u32 v[44:45], null, s8, v46, 0
	s_clause 0x2
	global_store_b64 v[18:19], v[16:17], off
	global_store_b64 v[38:39], v[36:37], off
	;; [unrolled: 1-line block ×3, first 2 shown]
	v_dual_mov_b32 v23, v20 :: v_dual_add_nc_u32 v36, 0x5a0, v46
	v_fma_f32 v29, v145, 2.0, -v7
	v_mov_b32_e32 v41, v43
	v_fma_f32 v28, v78, 2.0, -v6
	s_delay_alu instid0(VALU_DEP_4)
	v_mad_co_u64_u32 v[17:18], null, s8, v36, 0
	v_mov_b32_e32 v16, v45
	v_lshlrev_b64_e32 v[14:15], 3, v[22:23]
	v_lshlrev_b64_e32 v[19:20], 3, v[40:41]
	v_dual_sub_f32 v5, v144, v62 :: v_dual_sub_f32 v4, v81, v4
	v_fma_f32 v25, v143, 2.0, -v3
	v_mad_co_u64_u32 v[21:22], null, s9, v46, v[16:17]
	v_add_co_u32 v14, vcc_lo, v0, v14
	v_mov_b32_e32 v16, v18
	s_wait_alu 0xfffd
	v_add_co_ci_u32_e32 v15, vcc_lo, v1, v15, vcc_lo
	v_mad_co_u64_u32 v[22:23], null, s8, v125, 0
	v_add_co_u32 v18, vcc_lo, v0, v19
	s_wait_alu 0xfffd
	v_add_co_ci_u32_e32 v19, vcc_lo, v1, v20, vcc_lo
	v_mov_b32_e32 v45, v21
	v_mad_co_u64_u32 v[20:21], null, s9, v36, v[16:17]
	v_mad_co_u64_u32 v[36:37], null, s8, v59, 0
	v_mov_b32_e32 v16, v23
	s_clause 0x1
	global_store_b64 v[14:15], v[34:35], off
	global_store_b64 v[18:19], v[12:13], off
	v_lshlrev_b64_e32 v[12:13], 3, v[44:45]
	v_fma_f32 v27, v144, 2.0, -v5
	v_mov_b32_e32 v18, v20
	v_mad_co_u64_u32 v[14:15], null, s9, v125, v[16:17]
	v_mov_b32_e32 v15, v37
	v_add_co_u32 v12, vcc_lo, v0, v12
	s_delay_alu instid0(VALU_DEP_4) | instskip(SKIP_4) | instid1(VALU_DEP_4)
	v_lshlrev_b64_e32 v[16:17], 3, v[17:18]
	v_mad_co_u64_u32 v[18:19], null, s8, v124, 0
	v_mov_b32_e32 v23, v14
	s_wait_alu 0xfffd
	v_add_co_ci_u32_e32 v13, vcc_lo, v1, v13, vcc_lo
	v_mad_co_u64_u32 v[14:15], null, s9, v59, v[15:16]
	v_add_co_u32 v15, vcc_lo, v0, v16
	s_wait_alu 0xfffd
	v_add_co_ci_u32_e32 v16, vcc_lo, v1, v17, vcc_lo
	v_lshrrev_b32_e32 v17, 5, v123
	global_store_b64 v[12:13], v[32:33], off
	v_dual_mov_b32 v37, v14 :: v_dual_mov_b32 v14, v19
	v_lshlrev_b64_e32 v[12:13], 3, v[22:23]
	global_store_b64 v[15:16], v[10:11], off
	v_fma_f32 v26, v81, 2.0, -v4
	v_lshlrev_b64_e32 v[19:20], 3, v[36:37]
	v_mad_co_u64_u32 v[21:22], null, s9, v124, v[14:15]
	v_mul_hi_u32 v14, 0x5b05b06, v17
	v_add_co_u32 v12, vcc_lo, v0, v12
	s_wait_alu 0xfffd
	v_add_co_ci_u32_e32 v13, vcc_lo, v1, v13, vcc_lo
	v_add_co_u32 v32, vcc_lo, v0, v19
	v_mad_co_u64_u32 v[22:23], null, s8, v57, 0
	v_mov_b32_e32 v19, v21
	v_mad_u32_u24 v17, 0x5a0, v14, v123
	s_wait_alu 0xfffd
	v_add_co_ci_u32_e32 v33, vcc_lo, v1, v20, vcc_lo
	v_lshrrev_b32_e32 v15, 5, v122
	s_clause 0x1
	global_store_b64 v[12:13], v[30:31], off
	global_store_b64 v[32:33], v[8:9], off
	v_lshlrev_b64_e32 v[8:9], 3, v[18:19]
	v_add_nc_u32_e32 v19, 0x5a0, v17
	v_mad_co_u64_u32 v[11:12], null, s8, v17, 0
	v_mul_hi_u32 v18, 0x5b05b06, v15
	v_mov_b32_e32 v10, v23
	s_delay_alu instid0(VALU_DEP_4) | instskip(SKIP_1) | instid1(VALU_DEP_3)
	v_mad_co_u64_u32 v[13:14], null, s8, v19, 0
	v_add_co_u32 v8, vcc_lo, v0, v8
	v_mad_co_u64_u32 v[15:16], null, s9, v57, v[10:11]
	v_mad_u32_u24 v30, 0x5a0, v18, v122
	s_wait_alu 0xfffd
	v_add_co_ci_u32_e32 v9, vcc_lo, v1, v9, vcc_lo
	v_mad_co_u64_u32 v[16:17], null, s9, v17, v[12:13]
	s_delay_alu instid0(VALU_DEP_3)
	v_mad_co_u64_u32 v[17:18], null, s8, v30, 0
	v_dual_mov_b32 v23, v15 :: v_dual_mov_b32 v10, v14
	v_add_nc_u32_e32 v31, 0x5a0, v30
	global_store_b64 v[8:9], v[28:29], off
	v_mov_b32_e32 v12, v16
	v_mad_co_u64_u32 v[19:20], null, s9, v19, v[10:11]
	v_lshlrev_b64_e32 v[9:10], 3, v[22:23]
	v_mad_co_u64_u32 v[20:21], null, s8, v31, 0
	v_mov_b32_e32 v8, v18
	v_lshlrev_b64_e32 v[11:12], 3, v[11:12]
	v_mov_b32_e32 v14, v19
	s_delay_alu instid0(VALU_DEP_3) | instskip(SKIP_2) | instid1(VALU_DEP_4)
	v_mad_co_u64_u32 v[15:16], null, s9, v30, v[8:9]
	v_mov_b32_e32 v8, v21
	v_add_co_u32 v9, vcc_lo, v0, v9
	v_lshlrev_b64_e32 v[13:14], 3, v[13:14]
	s_wait_alu 0xfffd
	v_add_co_ci_u32_e32 v10, vcc_lo, v1, v10, vcc_lo
	s_delay_alu instid0(VALU_DEP_3) | instskip(SKIP_4) | instid1(VALU_DEP_3)
	v_mad_co_u64_u32 v[21:22], null, s9, v31, v[8:9]
	v_mov_b32_e32 v18, v15
	v_add_co_u32 v11, vcc_lo, v0, v11
	s_wait_alu 0xfffd
	v_add_co_ci_u32_e32 v12, vcc_lo, v1, v12, vcc_lo
	v_lshlrev_b64_e32 v[15:16], 3, v[17:18]
	v_add_co_u32 v13, vcc_lo, v0, v13
	v_lshlrev_b64_e32 v[17:18], 3, v[20:21]
	s_wait_alu 0xfffd
	v_add_co_ci_u32_e32 v14, vcc_lo, v1, v14, vcc_lo
	s_delay_alu instid0(VALU_DEP_4)
	v_add_co_u32 v15, vcc_lo, v0, v15
	s_wait_alu 0xfffd
	v_add_co_ci_u32_e32 v16, vcc_lo, v1, v16, vcc_lo
	v_add_co_u32 v0, vcc_lo, v0, v17
	s_wait_alu 0xfffd
	v_add_co_ci_u32_e32 v1, vcc_lo, v1, v18, vcc_lo
	s_clause 0x4
	global_store_b64 v[9:10], v[6:7], off
	global_store_b64 v[11:12], v[26:27], off
	;; [unrolled: 1-line block ×5, first 2 shown]
.LBB0_15:
	s_nop 0
	s_sendmsg sendmsg(MSG_DEALLOC_VGPRS)
	s_endpgm
	.section	.rodata,"a",@progbits
	.p2align	6, 0x0
	.amdhsa_kernel fft_rtc_fwd_len2880_factors_10_6_6_2_2_2_wgs_96_tpt_96_halfLds_sp_ip_CI_sbrr_dirReg
		.amdhsa_group_segment_fixed_size 0
		.amdhsa_private_segment_fixed_size 0
		.amdhsa_kernarg_size 88
		.amdhsa_user_sgpr_count 2
		.amdhsa_user_sgpr_dispatch_ptr 0
		.amdhsa_user_sgpr_queue_ptr 0
		.amdhsa_user_sgpr_kernarg_segment_ptr 1
		.amdhsa_user_sgpr_dispatch_id 0
		.amdhsa_user_sgpr_private_segment_size 0
		.amdhsa_wavefront_size32 1
		.amdhsa_uses_dynamic_stack 0
		.amdhsa_enable_private_segment 0
		.amdhsa_system_sgpr_workgroup_id_x 1
		.amdhsa_system_sgpr_workgroup_id_y 0
		.amdhsa_system_sgpr_workgroup_id_z 0
		.amdhsa_system_sgpr_workgroup_info 0
		.amdhsa_system_vgpr_workitem_id 0
		.amdhsa_next_free_vgpr 182
		.amdhsa_next_free_sgpr 35
		.amdhsa_reserve_vcc 1
		.amdhsa_float_round_mode_32 0
		.amdhsa_float_round_mode_16_64 0
		.amdhsa_float_denorm_mode_32 3
		.amdhsa_float_denorm_mode_16_64 3
		.amdhsa_fp16_overflow 0
		.amdhsa_workgroup_processor_mode 1
		.amdhsa_memory_ordered 1
		.amdhsa_forward_progress 0
		.amdhsa_round_robin_scheduling 0
		.amdhsa_exception_fp_ieee_invalid_op 0
		.amdhsa_exception_fp_denorm_src 0
		.amdhsa_exception_fp_ieee_div_zero 0
		.amdhsa_exception_fp_ieee_overflow 0
		.amdhsa_exception_fp_ieee_underflow 0
		.amdhsa_exception_fp_ieee_inexact 0
		.amdhsa_exception_int_div_zero 0
	.end_amdhsa_kernel
	.text
.Lfunc_end0:
	.size	fft_rtc_fwd_len2880_factors_10_6_6_2_2_2_wgs_96_tpt_96_halfLds_sp_ip_CI_sbrr_dirReg, .Lfunc_end0-fft_rtc_fwd_len2880_factors_10_6_6_2_2_2_wgs_96_tpt_96_halfLds_sp_ip_CI_sbrr_dirReg
                                        ; -- End function
	.section	.AMDGPU.csdata,"",@progbits
; Kernel info:
; codeLenInByte = 21412
; NumSgprs: 37
; NumVgprs: 182
; ScratchSize: 0
; MemoryBound: 0
; FloatMode: 240
; IeeeMode: 1
; LDSByteSize: 0 bytes/workgroup (compile time only)
; SGPRBlocks: 4
; VGPRBlocks: 22
; NumSGPRsForWavesPerEU: 37
; NumVGPRsForWavesPerEU: 182
; Occupancy: 8
; WaveLimiterHint : 1
; COMPUTE_PGM_RSRC2:SCRATCH_EN: 0
; COMPUTE_PGM_RSRC2:USER_SGPR: 2
; COMPUTE_PGM_RSRC2:TRAP_HANDLER: 0
; COMPUTE_PGM_RSRC2:TGID_X_EN: 1
; COMPUTE_PGM_RSRC2:TGID_Y_EN: 0
; COMPUTE_PGM_RSRC2:TGID_Z_EN: 0
; COMPUTE_PGM_RSRC2:TIDIG_COMP_CNT: 0
	.text
	.p2alignl 7, 3214868480
	.fill 96, 4, 3214868480
	.type	__hip_cuid_5893f0e4b93e3714,@object ; @__hip_cuid_5893f0e4b93e3714
	.section	.bss,"aw",@nobits
	.globl	__hip_cuid_5893f0e4b93e3714
__hip_cuid_5893f0e4b93e3714:
	.byte	0                               ; 0x0
	.size	__hip_cuid_5893f0e4b93e3714, 1

	.ident	"AMD clang version 19.0.0git (https://github.com/RadeonOpenCompute/llvm-project roc-6.4.0 25133 c7fe45cf4b819c5991fe208aaa96edf142730f1d)"
	.section	".note.GNU-stack","",@progbits
	.addrsig
	.addrsig_sym __hip_cuid_5893f0e4b93e3714
	.amdgpu_metadata
---
amdhsa.kernels:
  - .args:
      - .actual_access:  read_only
        .address_space:  global
        .offset:         0
        .size:           8
        .value_kind:     global_buffer
      - .offset:         8
        .size:           8
        .value_kind:     by_value
      - .actual_access:  read_only
        .address_space:  global
        .offset:         16
        .size:           8
        .value_kind:     global_buffer
      - .actual_access:  read_only
        .address_space:  global
        .offset:         24
        .size:           8
        .value_kind:     global_buffer
      - .offset:         32
        .size:           8
        .value_kind:     by_value
      - .actual_access:  read_only
        .address_space:  global
        .offset:         40
        .size:           8
        .value_kind:     global_buffer
      - .actual_access:  read_only
        .address_space:  global
        .offset:         48
        .size:           8
        .value_kind:     global_buffer
      - .offset:         56
        .size:           4
        .value_kind:     by_value
      - .actual_access:  read_only
        .address_space:  global
        .offset:         64
        .size:           8
        .value_kind:     global_buffer
      - .actual_access:  read_only
        .address_space:  global
        .offset:         72
        .size:           8
        .value_kind:     global_buffer
      - .address_space:  global
        .offset:         80
        .size:           8
        .value_kind:     global_buffer
    .group_segment_fixed_size: 0
    .kernarg_segment_align: 8
    .kernarg_segment_size: 88
    .language:       OpenCL C
    .language_version:
      - 2
      - 0
    .max_flat_workgroup_size: 96
    .name:           fft_rtc_fwd_len2880_factors_10_6_6_2_2_2_wgs_96_tpt_96_halfLds_sp_ip_CI_sbrr_dirReg
    .private_segment_fixed_size: 0
    .sgpr_count:     37
    .sgpr_spill_count: 0
    .symbol:         fft_rtc_fwd_len2880_factors_10_6_6_2_2_2_wgs_96_tpt_96_halfLds_sp_ip_CI_sbrr_dirReg.kd
    .uniform_work_group_size: 1
    .uses_dynamic_stack: false
    .vgpr_count:     182
    .vgpr_spill_count: 0
    .wavefront_size: 32
    .workgroup_processor_mode: 1
amdhsa.target:   amdgcn-amd-amdhsa--gfx1201
amdhsa.version:
  - 1
  - 2
...

	.end_amdgpu_metadata
